;; amdgpu-corpus repo=ROCm/rocFFT kind=compiled arch=gfx906 opt=O3
	.text
	.amdgcn_target "amdgcn-amd-amdhsa--gfx906"
	.amdhsa_code_object_version 6
	.protected	fft_rtc_fwd_len208_factors_13_16_wgs_144_tpt_16_dp_ip_CI_sbcc_twdbase5_3step ; -- Begin function fft_rtc_fwd_len208_factors_13_16_wgs_144_tpt_16_dp_ip_CI_sbcc_twdbase5_3step
	.globl	fft_rtc_fwd_len208_factors_13_16_wgs_144_tpt_16_dp_ip_CI_sbcc_twdbase5_3step
	.p2align	8
	.type	fft_rtc_fwd_len208_factors_13_16_wgs_144_tpt_16_dp_ip_CI_sbcc_twdbase5_3step,@function
fft_rtc_fwd_len208_factors_13_16_wgs_144_tpt_16_dp_ip_CI_sbcc_twdbase5_3step: ; @fft_rtc_fwd_len208_factors_13_16_wgs_144_tpt_16_dp_ip_CI_sbcc_twdbase5_3step
; %bb.0:
	s_load_dwordx8 s[8:15], s[4:5], 0x8
	s_mov_b64 s[46:47], s[2:3]
	s_mov_b64 s[44:45], s[0:1]
	s_add_u32 s44, s44, s7
	s_movk_i32 s0, 0x60
	s_addc_u32 s45, s45, 0
	v_cmp_gt_u32_e32 vcc, s0, v0
	s_and_saveexec_b64 s[0:1], vcc
	s_cbranch_execz .LBB0_2
; %bb.1:
	v_lshlrev_b32_e32 v5, 4, v0
	s_waitcnt lgkmcnt(0)
	global_load_dwordx4 v[1:4], v5, s[8:9]
	v_add_u32_e32 v5, 0, v5
	v_add_u32_e32 v5, 0x7500, v5
	s_waitcnt vmcnt(0)
	ds_write2_b64 v5, v[1:2], v[3:4] offset1:1
.LBB0_2:
	s_or_b64 exec, exec, s[0:1]
	s_waitcnt lgkmcnt(0)
	s_load_dwordx2 s[20:21], s[12:13], 0x8
	s_mov_b32 s7, 0
	s_mov_b64 s[24:25], 0
	s_waitcnt lgkmcnt(0)
	s_add_u32 s0, s20, -1
	s_addc_u32 s1, s21, -1
	s_add_u32 s2, 0, 0x71c4fc00
	s_addc_u32 s3, 0, 0x7c
	s_mul_hi_u32 s9, s2, -9
	s_add_i32 s3, s3, 0x1c71c6a0
	s_sub_i32 s9, s9, s2
	s_mul_i32 s18, s3, -9
	s_mul_i32 s8, s2, -9
	s_add_i32 s9, s9, s18
	s_mul_hi_u32 s16, s3, s8
	s_mul_i32 s17, s3, s8
	s_mul_i32 s19, s2, s9
	s_mul_hi_u32 s8, s2, s8
	s_mul_hi_u32 s18, s2, s9
	s_add_u32 s8, s8, s19
	s_addc_u32 s18, 0, s18
	s_add_u32 s8, s8, s17
	s_mul_hi_u32 s19, s3, s9
	s_addc_u32 s8, s18, s16
	s_addc_u32 s16, s19, 0
	s_mul_i32 s9, s3, s9
	s_add_u32 s8, s8, s9
	v_mov_b32_e32 v1, s8
	s_addc_u32 s9, 0, s16
	v_add_co_u32_e32 v1, vcc, s2, v1
	s_cmp_lg_u64 vcc, 0
	s_addc_u32 s2, s3, s9
	v_readfirstlane_b32 s9, v1
	s_mul_i32 s8, s0, s2
	s_mul_hi_u32 s16, s0, s9
	s_mul_hi_u32 s3, s0, s2
	s_add_u32 s8, s16, s8
	s_addc_u32 s3, 0, s3
	s_mul_hi_u32 s17, s1, s9
	s_mul_i32 s9, s1, s9
	s_add_u32 s8, s8, s9
	s_mul_hi_u32 s16, s1, s2
	s_addc_u32 s3, s3, s17
	s_addc_u32 s8, s16, 0
	s_mul_i32 s2, s1, s2
	s_add_u32 s2, s3, s2
	s_addc_u32 s3, 0, s8
	s_add_u32 s8, s2, 1
	s_addc_u32 s9, s3, 0
	s_add_u32 s16, s2, 2
	s_mul_i32 s18, s3, 9
	s_mul_hi_u32 s19, s2, 9
	s_addc_u32 s17, s3, 0
	s_add_i32 s19, s19, s18
	s_mul_i32 s18, s2, 9
	v_mov_b32_e32 v1, s18
	v_sub_co_u32_e32 v1, vcc, s0, v1
	s_cmp_lg_u64 vcc, 0
	s_subb_u32 s0, s1, s19
	v_subrev_co_u32_e32 v2, vcc, 9, v1
	s_cmp_lg_u64 vcc, 0
	s_subb_u32 s1, s0, 0
	v_readfirstlane_b32 s18, v2
	s_cmp_gt_u32 s18, 8
	s_cselect_b32 s18, -1, 0
	s_cmp_eq_u32 s1, 0
	s_cselect_b32 s1, s18, -1
	s_cmp_lg_u32 s1, 0
	s_cselect_b32 s1, s16, s8
	s_cselect_b32 s8, s17, s9
	v_readfirstlane_b32 s9, v1
	s_cmp_gt_u32 s9, 8
	s_cselect_b32 s9, -1, 0
	s_cmp_eq_u32 s0, 0
	s_cselect_b32 s0, s9, -1
	s_cmp_lg_u32 s0, 0
	s_cselect_b32 s1, s1, s2
	s_cselect_b32 s0, s8, s3
	s_add_u32 s22, s1, 1
	s_addc_u32 s23, s0, 0
	v_mov_b32_e32 v1, s22
	v_mov_b32_e32 v2, s23
	v_cmp_lt_u64_e32 vcc, s[6:7], v[1:2]
	s_cbranch_vccnz .LBB0_4
; %bb.3:
	v_cvt_f32_u32_e32 v1, s22
	s_sub_i32 s0, 0, s22
	s_mov_b32 s25, s7
	v_rcp_iflag_f32_e32 v1, v1
	v_mul_f32_e32 v1, 0x4f7ffffe, v1
	v_cvt_u32_f32_e32 v1, v1
	v_readfirstlane_b32 s1, v1
	s_mul_i32 s0, s0, s1
	s_mul_hi_u32 s0, s1, s0
	s_add_i32 s1, s1, s0
	s_mul_hi_u32 s0, s6, s1
	s_mul_i32 s2, s0, s22
	s_sub_i32 s2, s6, s2
	s_add_i32 s1, s0, 1
	s_sub_i32 s3, s2, s22
	s_cmp_ge_u32 s2, s22
	s_cselect_b32 s0, s1, s0
	s_cselect_b32 s2, s3, s2
	s_add_i32 s1, s0, 1
	s_cmp_ge_u32 s2, s22
	s_cselect_b32 s24, s1, s0
.LBB0_4:
	s_mul_i32 s0, s24, s23
	s_mul_hi_u32 s1, s24, s22
	s_load_dwordx2 s[2:3], s[4:5], 0x58
	s_load_dwordx2 s[8:9], s[4:5], 0x0
	s_load_dwordx4 s[16:19], s[14:15], 0x0
	s_add_i32 s1, s1, s0
	s_mul_i32 s0, s24, s22
	s_sub_u32 s36, s6, s0
	s_subb_u32 s0, 0, s1
	s_mul_i32 s0, s0, 9
	s_mul_hi_u32 s33, s36, 9
	s_add_i32 s33, s33, s0
	s_mul_i32 s36, s36, 9
	s_waitcnt lgkmcnt(0)
	s_mul_i32 s0, s18, s33
	s_mul_hi_u32 s1, s18, s36
	s_add_i32 s0, s1, s0
	s_mul_i32 s1, s19, s36
	s_add_i32 s37, s0, s1
	v_cmp_lt_u64_e64 s[0:1], s[10:11], 3
	s_mul_i32 s38, s18, s36
	s_and_b64 vcc, exec, s[0:1]
	s_cbranch_vccnz .LBB0_14
; %bb.5:
	s_add_u32 s4, s14, 16
	s_addc_u32 s5, s15, 0
	s_add_u32 s12, s12, 16
	v_mov_b32_e32 v1, s10
	s_addc_u32 s13, s13, 0
	s_mov_b64 s[26:27], 2
	s_mov_b32 s28, 0
	v_mov_b32_e32 v2, s11
.LBB0_6:                                ; =>This Inner Loop Header: Depth=1
	s_load_dwordx2 s[30:31], s[12:13], 0x0
	s_waitcnt lgkmcnt(0)
	s_or_b64 s[0:1], s[24:25], s[30:31]
	s_mov_b32 s29, s1
	s_cmp_lg_u64 s[28:29], 0
	s_cbranch_scc0 .LBB0_11
; %bb.7:                                ;   in Loop: Header=BB0_6 Depth=1
	v_cvt_f32_u32_e32 v3, s30
	v_cvt_f32_u32_e32 v4, s31
	s_sub_u32 s0, 0, s30
	s_subb_u32 s1, 0, s31
	v_mac_f32_e32 v3, 0x4f800000, v4
	v_rcp_f32_e32 v3, v3
	v_mul_f32_e32 v3, 0x5f7ffffc, v3
	v_mul_f32_e32 v4, 0x2f800000, v3
	v_trunc_f32_e32 v4, v4
	v_mac_f32_e32 v3, 0xcf800000, v4
	v_cvt_u32_f32_e32 v4, v4
	v_cvt_u32_f32_e32 v3, v3
	v_readfirstlane_b32 s29, v4
	v_readfirstlane_b32 s34, v3
	s_mul_i32 s35, s0, s29
	s_mul_hi_u32 s40, s0, s34
	s_mul_i32 s39, s1, s34
	s_add_i32 s35, s40, s35
	s_mul_i32 s41, s0, s34
	s_add_i32 s35, s35, s39
	s_mul_hi_u32 s39, s34, s35
	s_mul_i32 s40, s34, s35
	s_mul_hi_u32 s34, s34, s41
	s_add_u32 s34, s34, s40
	s_addc_u32 s39, 0, s39
	s_mul_hi_u32 s42, s29, s41
	s_mul_i32 s41, s29, s41
	s_add_u32 s34, s34, s41
	s_mul_hi_u32 s40, s29, s35
	s_addc_u32 s34, s39, s42
	s_addc_u32 s39, s40, 0
	s_mul_i32 s35, s29, s35
	s_add_u32 s34, s34, s35
	s_addc_u32 s35, 0, s39
	v_add_co_u32_e32 v3, vcc, s34, v3
	s_cmp_lg_u64 vcc, 0
	s_addc_u32 s29, s29, s35
	v_readfirstlane_b32 s35, v3
	s_mul_i32 s34, s0, s29
	s_mul_hi_u32 s39, s0, s35
	s_add_i32 s34, s39, s34
	s_mul_i32 s1, s1, s35
	s_add_i32 s34, s34, s1
	s_mul_i32 s0, s0, s35
	s_mul_hi_u32 s39, s29, s0
	s_mul_i32 s40, s29, s0
	s_mul_i32 s42, s35, s34
	s_mul_hi_u32 s0, s35, s0
	s_mul_hi_u32 s41, s35, s34
	s_add_u32 s0, s0, s42
	s_addc_u32 s35, 0, s41
	s_add_u32 s0, s0, s40
	s_mul_hi_u32 s1, s29, s34
	s_addc_u32 s0, s35, s39
	s_addc_u32 s1, s1, 0
	s_mul_i32 s34, s29, s34
	s_add_u32 s0, s0, s34
	s_addc_u32 s1, 0, s1
	v_add_co_u32_e32 v3, vcc, s0, v3
	s_cmp_lg_u64 vcc, 0
	s_addc_u32 s0, s29, s1
	v_readfirstlane_b32 s34, v3
	s_mul_i32 s29, s24, s0
	s_mul_hi_u32 s35, s24, s34
	s_mul_hi_u32 s1, s24, s0
	s_add_u32 s29, s35, s29
	s_addc_u32 s1, 0, s1
	s_mul_hi_u32 s39, s25, s34
	s_mul_i32 s34, s25, s34
	s_add_u32 s29, s29, s34
	s_mul_hi_u32 s35, s25, s0
	s_addc_u32 s1, s1, s39
	s_addc_u32 s29, s35, 0
	s_mul_i32 s0, s25, s0
	s_add_u32 s34, s1, s0
	s_addc_u32 s29, 0, s29
	s_mul_i32 s0, s30, s29
	s_mul_hi_u32 s1, s30, s34
	s_add_i32 s0, s1, s0
	s_mul_i32 s1, s31, s34
	s_add_i32 s35, s0, s1
	s_mul_i32 s1, s30, s34
	v_mov_b32_e32 v3, s1
	s_sub_i32 s0, s25, s35
	v_sub_co_u32_e32 v3, vcc, s24, v3
	s_cmp_lg_u64 vcc, 0
	s_subb_u32 s39, s0, s31
	v_subrev_co_u32_e64 v4, s[0:1], s30, v3
	s_cmp_lg_u64 s[0:1], 0
	s_subb_u32 s0, s39, 0
	s_cmp_ge_u32 s0, s31
	v_readfirstlane_b32 s39, v4
	s_cselect_b32 s1, -1, 0
	s_cmp_ge_u32 s39, s30
	s_cselect_b32 s39, -1, 0
	s_cmp_eq_u32 s0, s31
	s_cselect_b32 s0, s39, s1
	s_add_u32 s1, s34, 1
	s_addc_u32 s39, s29, 0
	s_add_u32 s40, s34, 2
	s_addc_u32 s41, s29, 0
	s_cmp_lg_u32 s0, 0
	s_cselect_b32 s0, s40, s1
	s_cselect_b32 s1, s41, s39
	s_cmp_lg_u64 vcc, 0
	s_subb_u32 s35, s25, s35
	s_cmp_ge_u32 s35, s31
	v_readfirstlane_b32 s40, v3
	s_cselect_b32 s39, -1, 0
	s_cmp_ge_u32 s40, s30
	s_cselect_b32 s40, -1, 0
	s_cmp_eq_u32 s35, s31
	s_cselect_b32 s35, s40, s39
	s_cmp_lg_u32 s35, 0
	s_cselect_b32 s1, s1, s29
	s_cselect_b32 s0, s0, s34
	s_cbranch_execnz .LBB0_9
.LBB0_8:                                ;   in Loop: Header=BB0_6 Depth=1
	v_cvt_f32_u32_e32 v3, s30
	s_sub_i32 s0, 0, s30
	v_rcp_iflag_f32_e32 v3, v3
	v_mul_f32_e32 v3, 0x4f7ffffe, v3
	v_cvt_u32_f32_e32 v3, v3
	v_readfirstlane_b32 s1, v3
	s_mul_i32 s0, s0, s1
	s_mul_hi_u32 s0, s1, s0
	s_add_i32 s1, s1, s0
	s_mul_hi_u32 s0, s24, s1
	s_mul_i32 s29, s0, s30
	s_sub_i32 s29, s24, s29
	s_add_i32 s1, s0, 1
	s_sub_i32 s34, s29, s30
	s_cmp_ge_u32 s29, s30
	s_cselect_b32 s0, s1, s0
	s_cselect_b32 s29, s34, s29
	s_add_i32 s1, s0, 1
	s_cmp_ge_u32 s29, s30
	s_cselect_b32 s0, s1, s0
	s_mov_b32 s1, s28
.LBB0_9:                                ;   in Loop: Header=BB0_6 Depth=1
	s_mul_i32 s23, s30, s23
	s_mul_hi_u32 s29, s30, s22
	s_add_i32 s23, s29, s23
	s_mul_i32 s29, s31, s22
	s_add_i32 s23, s23, s29
	s_mul_i32 s29, s0, s31
	s_mul_hi_u32 s31, s0, s30
	s_load_dwordx2 s[34:35], s[4:5], 0x0
	s_add_i32 s29, s31, s29
	s_mul_i32 s31, s1, s30
	s_mul_i32 s22, s30, s22
	s_add_i32 s29, s29, s31
	s_mul_i32 s30, s0, s30
	s_sub_u32 s24, s24, s30
	s_subb_u32 s25, s25, s29
	s_waitcnt lgkmcnt(0)
	s_mul_i32 s25, s34, s25
	s_mul_hi_u32 s29, s34, s24
	s_add_i32 s25, s29, s25
	s_mul_i32 s29, s35, s24
	s_add_i32 s25, s25, s29
	s_mul_i32 s24, s34, s24
	s_add_u32 s38, s24, s38
	s_addc_u32 s37, s25, s37
	s_add_u32 s26, s26, 1
	s_addc_u32 s27, s27, 0
	;; [unrolled: 2-line block ×3, first 2 shown]
	v_cmp_ge_u64_e32 vcc, s[26:27], v[1:2]
	s_add_u32 s12, s12, 8
	s_addc_u32 s13, s13, 0
	s_cbranch_vccnz .LBB0_12
; %bb.10:                               ;   in Loop: Header=BB0_6 Depth=1
	s_mov_b64 s[24:25], s[0:1]
	s_branch .LBB0_6
.LBB0_11:                               ;   in Loop: Header=BB0_6 Depth=1
                                        ; implicit-def: $sgpr0_sgpr1
	s_branch .LBB0_8
.LBB0_12:
	v_mov_b32_e32 v1, s22
	v_mov_b32_e32 v2, s23
	v_cmp_lt_u64_e32 vcc, s[6:7], v[1:2]
	s_mov_b64 s[24:25], 0
	s_cbranch_vccnz .LBB0_14
; %bb.13:
	v_cvt_f32_u32_e32 v1, s22
	s_sub_i32 s0, 0, s22
	v_rcp_iflag_f32_e32 v1, v1
	v_mul_f32_e32 v1, 0x4f7ffffe, v1
	v_cvt_u32_f32_e32 v1, v1
	v_readfirstlane_b32 s1, v1
	s_mul_i32 s0, s0, s1
	s_mul_hi_u32 s0, s1, s0
	s_add_i32 s1, s1, s0
	s_mul_hi_u32 s0, s6, s1
	s_mul_i32 s4, s0, s22
	s_sub_i32 s4, s6, s4
	s_add_i32 s1, s0, 1
	s_sub_i32 s5, s4, s22
	s_cmp_ge_u32 s4, s22
	s_cselect_b32 s0, s1, s0
	s_cselect_b32 s4, s5, s4
	s_add_i32 s1, s0, 1
	s_cmp_ge_u32 s4, s22
	s_cselect_b32 s24, s1, s0
.LBB0_14:
	s_lshl_b64 s[0:1], s[10:11], 3
	s_add_u32 s0, s14, s0
	s_addc_u32 s1, s15, s1
	s_load_dwordx2 s[0:1], s[0:1], 0x0
	s_mov_b32 s4, 0x1c71c71d
	v_mul_hi_u32 v48, v0, s4
	v_mov_b32_e32 v1, s20
	v_mov_b32_e32 v2, s21
	s_waitcnt lgkmcnt(0)
	s_mul_i32 s1, s1, s24
	s_mul_hi_u32 s4, s0, s24
	s_mul_i32 s0, s0, s24
	s_add_i32 s1, s4, s1
	s_add_u32 s4, s0, s38
	s_addc_u32 s5, s1, s37
	s_add_u32 s0, s36, 9
	s_addc_u32 s1, s33, 0
	v_cmp_le_u64_e32 vcc, s[0:1], v[1:2]
	v_mul_u32_u24_e32 v1, 9, v48
	v_sub_u32_e32 v1, v0, v1
	v_mov_b32_e32 v2, s33
	buffer_store_dword v1, off, s[44:47], 0 ; 4-byte Folded Spill
	v_add_co_u32_e64 v1, s[0:1], s36, v1
	v_addc_co_u32_e64 v2, s[0:1], 0, v2, s[0:1]
	v_cmp_gt_u64_e64 s[0:1], s[20:21], v[1:2]
	s_or_b64 s[0:1], vcc, s[0:1]
	s_and_saveexec_b64 s[6:7], s[0:1]
	s_cbranch_execz .LBB0_16
; %bb.15:
	buffer_load_dword v63, off, s[44:47], 0 ; 4-byte Folded Reload
	v_mad_u64_u32 v[3:4], s[10:11], s16, v48, 0
	v_add_u32_e32 v8, 16, v48
	v_add_u32_e32 v34, 0x70, v48
	;; [unrolled: 1-line block ×4, first 2 shown]
	s_waitcnt vmcnt(0)
	v_mad_u64_u32 v[1:2], s[10:11], s18, v63, 0
	v_mad_u64_u32 v[5:6], s[10:11], s19, v63, v[2:3]
	v_mov_b32_e32 v2, v4
	v_mad_u64_u32 v[6:7], s[10:11], s17, v48, v[2:3]
	s_lshl_b64 s[10:11], s[4:5], 4
	s_add_u32 s12, s2, s10
	s_addc_u32 s10, s3, s11
	v_mov_b32_e32 v2, v5
	v_mov_b32_e32 v4, v6
	;; [unrolled: 1-line block ×3, first 2 shown]
	v_mad_u64_u32 v[5:6], s[10:11], s16, v8, 0
	v_lshlrev_b64 v[1:2], 4, v[1:2]
	v_add_co_u32_e32 v49, vcc, s12, v1
	v_addc_co_u32_e32 v50, vcc, v7, v2, vcc
	v_lshlrev_b64 v[1:2], 4, v[3:4]
	v_mov_b32_e32 v3, v6
	v_mad_u64_u32 v[3:4], s[10:11], s17, v8, v[3:4]
	v_add_co_u32_e32 v9, vcc, v49, v1
	v_mov_b32_e32 v6, v3
	v_addc_co_u32_e32 v10, vcc, v50, v2, vcc
	v_lshlrev_b64 v[1:2], 4, v[5:6]
	v_or_b32_e32 v3, 32, v48
	v_mad_u64_u32 v[11:12], s[10:11], s16, v3, 0
	v_add_co_u32_e32 v13, vcc, v49, v1
	v_addc_co_u32_e32 v14, vcc, v50, v2, vcc
	v_add_u32_e32 v2, 48, v48
	v_mad_u64_u32 v[15:16], s[10:11], s16, v2, 0
	v_mov_b32_e32 v1, v12
	v_mad_u64_u32 v[17:18], s[10:11], s17, v3, v[1:2]
	v_mov_b32_e32 v1, v16
	;; [unrolled: 2-line block ×3, first 2 shown]
	global_load_dwordx4 v[1:4], v[9:10], off
	global_load_dwordx4 v[5:8], v[13:14], off
	v_lshlrev_b64 v[9:10], 4, v[11:12]
	v_mov_b32_e32 v16, v18
	v_lshlrev_b64 v[11:12], 4, v[15:16]
	v_add_co_u32_e32 v17, vcc, v49, v9
	v_addc_co_u32_e32 v18, vcc, v50, v10, vcc
	v_add_co_u32_e32 v19, vcc, v49, v11
	v_or_b32_e32 v11, 64, v48
	v_mad_u64_u32 v[21:22], s[10:11], s16, v11, 0
	v_add_u32_e32 v10, 0x50, v48
	v_mad_u64_u32 v[23:24], s[10:11], s16, v10, 0
	v_mov_b32_e32 v9, v22
	v_mad_u64_u32 v[25:26], s[10:11], s17, v11, v[9:10]
	v_mov_b32_e32 v9, v24
	;; [unrolled: 2-line block ×3, first 2 shown]
	v_addc_co_u32_e32 v20, vcc, v50, v12, vcc
	global_load_dwordx4 v[9:12], v[17:18], off
	global_load_dwordx4 v[13:16], v[19:20], off
	v_lshlrev_b64 v[17:18], 4, v[21:22]
	v_mov_b32_e32 v24, v26
	v_add_co_u32_e32 v25, vcc, v49, v17
	v_addc_co_u32_e32 v26, vcc, v50, v18, vcc
	v_or_b32_e32 v18, 0x60, v48
	v_mad_u64_u32 v[27:28], s[10:11], s16, v18, 0
	v_lshlrev_b64 v[19:20], 4, v[23:24]
	v_mov_b32_e32 v17, v28
	v_mad_u64_u32 v[31:32], s[10:11], s17, v18, v[17:18]
	v_mad_u64_u32 v[32:33], s[10:11], s16, v34, 0
	v_add_co_u32_e32 v29, vcc, v49, v19
	v_mov_b32_e32 v28, v31
	v_addc_co_u32_e32 v30, vcc, v50, v20, vcc
	global_load_dwordx4 v[17:20], v[25:26], off
	global_load_dwordx4 v[21:24], v[29:30], off
	v_lshlrev_b64 v[25:26], 4, v[27:28]
	v_mov_b32_e32 v27, v33
	v_mad_u64_u32 v[27:28], s[10:11], s17, v34, v[27:28]
	v_add_co_u32_e32 v34, vcc, v49, v25
	v_mov_b32_e32 v33, v27
	v_or_b32_e32 v27, 0x80, v48
	v_mad_u64_u32 v[36:37], s[10:11], s16, v27, 0
	v_addc_co_u32_e32 v35, vcc, v50, v26, vcc
	v_lshlrev_b64 v[25:26], 4, v[32:33]
	v_add_co_u32_e32 v38, vcc, v49, v25
	v_mov_b32_e32 v25, v37
	v_mad_u64_u32 v[40:41], s[10:11], s17, v27, v[25:26]
	v_mad_u64_u32 v[41:42], s[10:11], s16, v43, 0
	v_addc_co_u32_e32 v39, vcc, v50, v26, vcc
	global_load_dwordx4 v[25:28], v[34:35], off
	global_load_dwordx4 v[29:32], v[38:39], off
	v_mov_b32_e32 v37, v40
	v_mov_b32_e32 v35, v42
	v_lshlrev_b64 v[33:34], 4, v[36:37]
	v_mad_u64_u32 v[35:36], s[10:11], s17, v43, v[35:36]
	v_add_co_u32_e32 v43, vcc, v49, v33
	v_mov_b32_e32 v42, v35
	v_or_b32_e32 v35, 0xa0, v48
	v_addc_co_u32_e32 v44, vcc, v50, v34, vcc
	v_lshlrev_b64 v[33:34], 4, v[41:42]
	v_mad_u64_u32 v[41:42], s[10:11], s16, v35, 0
	v_add_co_u32_e32 v45, vcc, v49, v33
	v_mov_b32_e32 v33, v42
	v_mad_u64_u32 v[51:52], s[10:11], s17, v35, v[33:34]
	v_mad_u64_u32 v[52:53], s[10:11], s16, v47, 0
	v_addc_co_u32_e32 v46, vcc, v50, v34, vcc
	global_load_dwordx4 v[33:36], v[43:44], off
	global_load_dwordx4 v[37:40], v[45:46], off
	v_mov_b32_e32 v43, v53
	v_mov_b32_e32 v42, v51
	v_mad_u64_u32 v[43:44], s[10:11], s17, v47, v[43:44]
	v_or_b32_e32 v51, 0xc0, v48
	v_mad_u64_u32 v[44:45], s[10:11], s16, v51, 0
	v_lshlrev_b64 v[41:42], 4, v[41:42]
	v_mov_b32_e32 v53, v43
	v_add_co_u32_e32 v46, vcc, v49, v41
	v_mov_b32_e32 v43, v45
	v_addc_co_u32_e32 v47, vcc, v50, v42, vcc
	v_lshlrev_b64 v[41:42], 4, v[52:53]
	v_mad_u64_u32 v[51:52], s[10:11], s17, v51, v[43:44]
	v_add_co_u32_e32 v59, vcc, v49, v41
	v_mov_b32_e32 v45, v51
	v_addc_co_u32_e32 v60, vcc, v50, v42, vcc
	v_lshlrev_b64 v[41:42], 4, v[44:45]
	s_movk_i32 s10, 0xd00
	v_add_co_u32_e32 v61, vcc, v49, v41
	v_addc_co_u32_e32 v62, vcc, v50, v42, vcc
	global_load_dwordx4 v[41:44], v[46:47], off
	global_load_dwordx4 v[51:54], v[59:60], off
	;; [unrolled: 1-line block ×3, first 2 shown]
	v_mul_lo_u32 v45, v63, s10
	v_lshlrev_b32_e32 v46, 4, v48
	v_add3_u32 v45, 0, v45, v46
	s_waitcnt vmcnt(12)
	ds_write_b128 v45, v[1:4]
	s_waitcnt vmcnt(11)
	ds_write_b128 v45, v[5:8] offset:256
	s_waitcnt vmcnt(10)
	ds_write_b128 v45, v[9:12] offset:512
	;; [unrolled: 2-line block ×12, first 2 shown]
.LBB0_16:
	s_or_b64 exec, exec, s[6:7]
	s_add_u32 s6, 0, 0x71c4fc00
	s_addc_u32 s7, 0, 0x7c
	s_add_i32 s7, s7, 0x1c71c6a0
	s_mul_hi_u32 s13, s6, -9
	s_sub_i32 s13, s13, s6
	s_mul_i32 s14, s7, -9
	s_mul_i32 s10, s6, -9
	s_add_i32 s13, s13, s14
	s_mul_hi_u32 s11, s7, s10
	s_mul_i32 s12, s7, s10
	s_mul_i32 s15, s6, s13
	s_mul_hi_u32 s10, s6, s10
	s_mul_hi_u32 s14, s6, s13
	s_add_u32 s10, s10, s15
	s_addc_u32 s14, 0, s14
	s_add_u32 s10, s10, s12
	s_mul_hi_u32 s15, s7, s13
	s_addc_u32 s10, s14, s11
	v_lshrrev_b32_e32 v1, 4, v0
	s_addc_u32 s11, s15, 0
	s_mul_i32 s12, s7, s13
	v_mov_b32_e32 v2, s33
	v_add_co_u32_e32 v56, vcc, s36, v1
	s_add_u32 s10, s10, s12
	v_addc_co_u32_e32 v5, vcc, 0, v2, vcc
	v_mov_b32_e32 v1, s10
	s_addc_u32 s11, 0, s11
	v_add_co_u32_e32 v3, vcc, s6, v1
	s_cmp_lg_u64 vcc, 0
	s_addc_u32 s10, s7, s11
	v_mad_u64_u32 v[1:2], s[6:7], v56, s10, 0
	v_mul_hi_u32 v4, v56, v3
	v_and_b32_e32 v57, 15, v0
	s_waitcnt vmcnt(0) lgkmcnt(0)
	s_barrier
	v_add_co_u32_e32 v6, vcc, v4, v1
	v_addc_co_u32_e32 v7, vcc, 0, v2, vcc
	v_mad_u64_u32 v[1:2], s[6:7], v5, v3, 0
	v_mad_u64_u32 v[3:4], s[6:7], v5, s10, 0
	v_add_co_u32_e32 v1, vcc, v6, v1
	v_addc_co_u32_e32 v1, vcc, v7, v2, vcc
	v_addc_co_u32_e32 v2, vcc, 0, v4, vcc
	v_add_co_u32_e32 v1, vcc, v1, v3
	v_addc_co_u32_e32 v3, vcc, 0, v2, vcc
	v_mad_u64_u32 v[1:2], s[6:7], v1, 9, 0
	s_mov_b32 s30, 0x42a4c3d2
	v_mad_u64_u32 v[2:3], s[6:7], v3, 9, v[2:3]
	v_sub_co_u32_e32 v1, vcc, v56, v1
	v_subb_co_u32_e32 v2, vcc, v5, v2, vcc
	v_subrev_co_u32_e32 v3, vcc, 9, v1
	v_subbrev_co_u32_e32 v4, vcc, 0, v2, vcc
	v_cmp_lt_u32_e32 vcc, 8, v3
	v_cndmask_b32_e64 v5, 0, -1, vcc
	v_cmp_eq_u32_e32 vcc, 0, v4
	v_cndmask_b32_e32 v4, -1, v5, vcc
	v_add_u32_e32 v5, -9, v3
	v_cmp_ne_u32_e32 vcc, 0, v4
	v_cndmask_b32_e32 v3, v3, v5, vcc
	v_cmp_lt_u32_e32 vcc, 8, v1
	v_cndmask_b32_e64 v4, 0, -1, vcc
	v_cmp_eq_u32_e32 vcc, 0, v2
	v_cndmask_b32_e32 v2, -1, v4, vcc
	v_cmp_ne_u32_e32 vcc, 0, v2
	v_cndmask_b32_e32 v1, v1, v3, vcc
	v_mul_u32_u24_e32 v1, 0xd0, v1
	v_lshlrev_b32_e32 v0, 4, v1
	v_add_u32_e32 v58, 0, v0
	v_lshlrev_b32_e32 v1, 4, v57
	v_add_u32_e32 v2, v58, v1
	buffer_store_dword v2, off, s[44:47], 0 offset:4 ; 4-byte Folded Spill
	v_add3_u32 v51, 0, v1, v0
	ds_read_b128 v[4:7], v2
	ds_read_b128 v[0:3], v51 offset:256
	ds_read_b128 v[12:15], v51 offset:512
	;; [unrolled: 1-line block ×9, first 2 shown]
	s_waitcnt lgkmcnt(8)
	v_add_f64 v[8:9], v[4:5], v[0:1]
	v_add_f64 v[10:11], v[6:7], v[2:3]
	ds_read_b128 v[24:27], v51 offset:2560
	ds_read_b128 v[16:19], v51 offset:2816
	;; [unrolled: 1-line block ×3, first 2 shown]
	s_mov_b32 s38, 0x66966769
	s_mov_b32 s20, 0x2ef20147
	;; [unrolled: 1-line block ×4, first 2 shown]
	s_waitcnt lgkmcnt(10)
	v_add_f64 v[8:9], v[8:9], v[12:13]
	v_add_f64 v[10:11], v[10:11], v[14:15]
	s_waitcnt lgkmcnt(0)
	v_add_f64 v[71:72], v[0:1], -v[59:60]
	v_add_f64 v[73:74], v[2:3], -v[61:62]
	s_mov_b32 s25, 0xbfddbe06
	s_mov_b32 s24, 0x4267c47c
	;; [unrolled: 1-line block ×4, first 2 shown]
	v_add_f64 v[8:9], v[8:9], v[20:21]
	v_add_f64 v[10:11], v[10:11], v[22:23]
	s_mov_b32 s21, 0xbfedeba7
	s_mov_b32 s27, 0xbfe5384d
	;; [unrolled: 1-line block ×3, first 2 shown]
	v_add_f64 v[67:68], v[0:1], v[59:60]
	v_add_f64 v[69:70], v[2:3], v[61:62]
	v_mul_f64 v[75:76], v[73:74], s[20:21]
	v_add_f64 v[8:9], v[8:9], v[28:29]
	v_add_f64 v[10:11], v[10:11], v[30:31]
	v_mul_f64 v[77:78], v[73:74], s[26:27]
	v_mul_f64 v[83:84], v[71:72], s[24:25]
	v_mul_f64 v[87:88], v[71:72], s[30:31]
	s_mov_b32 s14, 0xe00740e9
	s_mov_b32 s12, 0x1ea71119
	;; [unrolled: 1-line block ×3, first 2 shown]
	v_add_f64 v[8:9], v[8:9], v[36:37]
	v_add_f64 v[10:11], v[10:11], v[38:39]
	s_mov_b32 s10, 0xb2365da1
	s_mov_b32 s22, 0xd0032e0c
	s_mov_b32 s28, 0x93053d00
	s_mov_b32 s15, 0x3fec55a7
	s_mov_b32 s13, 0x3fe22d96
	s_mov_b32 s7, 0x3fbedb7d
	v_add_f64 v[8:9], v[8:9], v[44:45]
	v_add_f64 v[10:11], v[10:11], v[46:47]
	s_mov_b32 s11, 0xbfd6b1d8
	s_mov_b32 s23, 0xbfe7f3cc
	;; [unrolled: 1-line block ×3, first 2 shown]
	v_fma_f64 v[79:80], v[67:68], s[10:11], -v[75:76]
	v_fma_f64 v[75:76], v[67:68], s[10:11], v[75:76]
	v_fma_f64 v[81:82], v[67:68], s[22:23], -v[77:78]
	v_add_f64 v[8:9], v[8:9], v[52:53]
	v_add_f64 v[10:11], v[10:11], v[54:55]
	v_fma_f64 v[77:78], v[67:68], s[22:23], v[77:78]
	v_fma_f64 v[89:90], v[69:70], s[14:15], v[83:84]
	v_mul_f64 v[91:92], v[71:72], s[20:21]
	v_mul_f64 v[93:94], v[71:72], s[26:27]
	v_fma_f64 v[95:96], v[69:70], s[12:13], v[87:88]
	v_fma_f64 v[87:88], v[69:70], s[12:13], -v[87:88]
	v_add_f64 v[8:9], v[8:9], v[40:41]
	v_add_f64 v[10:11], v[10:11], v[42:43]
	v_fma_f64 v[83:84], v[69:70], s[14:15], -v[83:84]
	v_add_f64 v[79:80], v[4:5], v[79:80]
	v_fma_f64 v[99:100], v[69:70], s[10:11], v[91:92]
	v_fma_f64 v[91:92], v[69:70], s[10:11], -v[91:92]
	v_fma_f64 v[101:102], v[69:70], s[22:23], v[93:94]
	v_fma_f64 v[93:94], v[69:70], s[22:23], -v[93:94]
	v_add_f64 v[8:9], v[8:9], v[32:33]
	v_add_f64 v[10:11], v[10:11], v[34:35]
	;; [unrolled: 1-line block ×11, first 2 shown]
	v_add_f64 v[14:15], v[14:15], -v[18:19]
	v_add_f64 v[8:9], v[12:13], v[16:17]
	v_add_f64 v[12:13], v[12:13], -v[16:17]
	v_add_f64 v[81:82], v[4:5], v[81:82]
	v_add_f64 v[77:78], v[4:5], v[77:78]
	v_add_f64 v[63:64], v[63:64], v[16:17]
	v_add_f64 v[65:66], v[65:66], v[18:19]
	v_add_f64 v[18:19], v[22:23], v[26:27]
	v_add_f64 v[22:23], v[22:23], -v[26:27]
	v_add_f64 v[26:27], v[30:31], v[34:35]
	v_add_f64 v[30:31], v[30:31], -v[34:35]
	v_add_f64 v[34:35], v[38:39], v[42:43]
	;; [unrolled: 2-line block ×3, first 2 shown]
	v_add_f64 v[2:3], v[65:66], v[61:62]
	v_add_f64 v[42:43], v[44:45], v[52:53]
	v_mul_f64 v[59:60], v[73:74], s[24:25]
	v_add_f64 v[44:45], v[44:45], -v[52:53]
	v_mul_f64 v[52:53], v[73:74], s[30:31]
	v_mul_f64 v[61:62], v[73:74], s[38:39]
	;; [unrolled: 1-line block ×3, first 2 shown]
	v_add_f64 v[16:17], v[20:21], v[24:25]
	v_add_f64 v[20:21], v[20:21], -v[24:25]
	v_add_f64 v[24:25], v[28:29], v[32:33]
	v_add_f64 v[28:29], v[28:29], -v[32:33]
	;; [unrolled: 2-line block ×4, first 2 shown]
	v_fma_f64 v[54:55], v[67:68], s[14:15], -v[59:60]
	v_fma_f64 v[59:60], v[67:68], s[14:15], v[59:60]
	v_fma_f64 v[63:64], v[67:68], s[12:13], -v[52:53]
	v_fma_f64 v[52:53], v[67:68], s[12:13], v[52:53]
	v_fma_f64 v[65:66], v[67:68], s[6:7], -v[61:62]
	v_fma_f64 v[61:62], v[67:68], s[6:7], v[61:62]
	v_fma_f64 v[85:86], v[67:68], s[28:29], -v[73:74]
	v_fma_f64 v[67:68], v[67:68], s[28:29], v[73:74]
	v_mul_f64 v[73:74], v[71:72], s[38:39]
	v_mul_f64 v[71:72], v[71:72], s[34:35]
	;; [unrolled: 1-line block ×3, first 2 shown]
	v_add_f64 v[54:55], v[4:5], v[54:55]
	v_mul_f64 v[111:112], v[22:23], s[38:39]
	v_mul_f64 v[113:114], v[20:21], s[38:39]
	;; [unrolled: 1-line block ×3, first 2 shown]
	v_add_f64 v[59:60], v[4:5], v[59:60]
	v_fma_f64 v[97:98], v[69:70], s[6:7], v[73:74]
	v_fma_f64 v[73:74], v[69:70], s[6:7], -v[73:74]
	v_fma_f64 v[103:104], v[69:70], s[28:29], v[71:72]
	v_fma_f64 v[69:70], v[69:70], s[28:29], -v[71:72]
	v_add_f64 v[71:72], v[6:7], v[89:90]
	v_add_f64 v[89:90], v[6:7], v[95:96]
	;; [unrolled: 1-line block ×3, first 2 shown]
	v_mul_f64 v[52:53], v[14:15], s[30:31]
	v_fma_f64 v[109:110], v[10:11], s[12:13], v[87:88]
	v_fma_f64 v[101:102], v[18:19], s[6:7], v[113:114]
	v_add_f64 v[124:125], v[4:5], v[85:86]
	v_add_f64 v[126:127], v[6:7], v[103:104]
	v_fma_f64 v[85:86], v[10:11], s[12:13], -v[87:88]
	v_mul_f64 v[103:104], v[36:37], s[26:27]
	v_add_f64 v[63:64], v[4:5], v[63:64]
	v_fma_f64 v[99:100], v[8:9], s[12:13], -v[52:53]
	v_add_f64 v[71:72], v[109:110], v[71:72]
	v_mul_f64 v[109:110], v[30:31], s[20:21]
	v_fma_f64 v[52:53], v[8:9], s[12:13], v[52:53]
	v_add_f64 v[65:66], v[4:5], v[65:66]
	v_add_f64 v[97:98], v[6:7], v[97:98]
	;; [unrolled: 1-line block ×5, first 2 shown]
	v_fma_f64 v[99:100], v[16:17], s[6:7], -v[111:112]
	v_add_f64 v[71:72], v[101:102], v[71:72]
	v_fma_f64 v[87:88], v[24:25], s[10:11], -v[109:110]
	v_mul_f64 v[101:102], v[38:39], s[26:27]
	v_add_f64 v[52:53], v[52:53], v[59:60]
	v_add_f64 v[59:60], v[85:86], v[83:84]
	v_fma_f64 v[83:84], v[16:17], s[6:7], v[111:112]
	v_fma_f64 v[85:86], v[18:19], s[6:7], -v[113:114]
	v_add_f64 v[54:55], v[99:100], v[54:55]
	v_fma_f64 v[99:100], v[26:27], s[10:11], v[117:118]
	v_add_f64 v[93:94], v[6:7], v[93:94]
	v_add_f64 v[4:5], v[4:5], v[67:68]
	;; [unrolled: 1-line block ×3, first 2 shown]
	v_fma_f64 v[67:68], v[24:25], s[10:11], v[109:110]
	v_add_f64 v[52:53], v[83:84], v[52:53]
	v_add_f64 v[59:60], v[85:86], v[59:60]
	;; [unrolled: 1-line block ×4, first 2 shown]
	v_fma_f64 v[99:100], v[34:35], s[22:23], v[103:104]
	v_fma_f64 v[87:88], v[32:33], s[22:23], -v[101:102]
	v_fma_f64 v[69:70], v[26:27], s[10:11], -v[117:118]
	v_mul_f64 v[83:84], v[46:47], s[34:35]
	v_mul_f64 v[85:86], v[44:45], s[34:35]
	;; [unrolled: 1-line block ×3, first 2 shown]
	v_add_f64 v[52:53], v[67:68], v[52:53]
	v_fma_f64 v[67:68], v[32:33], s[22:23], v[101:102]
	v_add_f64 v[71:72], v[99:100], v[71:72]
	v_mul_f64 v[99:100], v[14:15], s[20:21]
	v_add_f64 v[54:55], v[87:88], v[54:55]
	v_add_f64 v[59:60], v[69:70], v[59:60]
	v_fma_f64 v[69:70], v[34:35], s[22:23], -v[103:104]
	v_fma_f64 v[87:88], v[42:43], s[28:29], -v[83:84]
	v_fma_f64 v[101:102], v[40:41], s[28:29], v[85:86]
	v_fma_f64 v[111:112], v[10:11], s[10:11], v[109:110]
	v_mul_f64 v[113:114], v[22:23], s[34:35]
	v_fma_f64 v[103:104], v[8:9], s[10:11], -v[99:100]
	v_mul_f64 v[117:118], v[20:21], s[34:35]
	s_mov_b32 s41, 0x3fe5384d
	s_mov_b32 s40, s26
	v_add_f64 v[52:53], v[67:68], v[52:53]
	v_add_f64 v[59:60], v[69:70], v[59:60]
	v_fma_f64 v[67:68], v[42:43], s[28:29], v[83:84]
	v_fma_f64 v[69:70], v[40:41], s[28:29], -v[85:86]
	v_add_f64 v[63:64], v[103:104], v[63:64]
	v_add_f64 v[89:90], v[111:112], v[89:90]
	v_fma_f64 v[103:104], v[16:17], s[28:29], -v[113:114]
	v_fma_f64 v[111:112], v[18:19], s[28:29], v[117:118]
	v_mul_f64 v[119:120], v[30:31], s[40:41]
	v_add_f64 v[84:85], v[87:88], v[54:55]
	v_add_f64 v[86:87], v[101:102], v[71:72]
	v_mul_f64 v[71:72], v[28:29], s[40:41]
	s_mov_b32 s37, 0x3fefc445
	s_mov_b32 s36, s38
	v_add_f64 v[52:53], v[67:68], v[52:53]
	v_add_f64 v[54:55], v[69:70], v[59:60]
	;; [unrolled: 1-line block ×4, first 2 shown]
	v_fma_f64 v[67:68], v[24:25], s[22:23], -v[119:120]
	v_fma_f64 v[69:70], v[8:9], s[10:11], v[99:100]
	v_fma_f64 v[88:89], v[10:11], s[10:11], -v[109:110]
	v_fma_f64 v[99:100], v[26:27], s[22:23], v[71:72]
	v_mul_f64 v[103:104], v[36:37], s[36:37]
	v_mul_f64 v[101:102], v[38:39], s[36:37]
	s_mov_b32 s25, 0x3fddbe06
	v_mul_f64 v[109:110], v[46:47], s[24:25]
	v_add_f64 v[59:60], v[67:68], v[59:60]
	v_add_f64 v[67:68], v[69:70], v[95:96]
	;; [unrolled: 1-line block ×3, first 2 shown]
	v_fma_f64 v[88:89], v[16:17], s[28:29], v[113:114]
	v_fma_f64 v[95:96], v[18:19], s[28:29], -v[117:118]
	v_add_f64 v[63:64], v[99:100], v[63:64]
	v_fma_f64 v[105:106], v[34:35], s[6:7], v[103:104]
	v_fma_f64 v[99:100], v[32:33], s[6:7], -v[101:102]
	v_mul_f64 v[111:112], v[44:45], s[24:25]
	v_fma_f64 v[71:72], v[26:27], s[22:23], -v[71:72]
	s_mov_b32 s43, 0x3fedeba7
	v_add_f64 v[67:68], v[88:89], v[67:68]
	v_add_f64 v[69:70], v[95:96], v[69:70]
	v_fma_f64 v[88:89], v[24:25], s[22:23], v[119:120]
	v_add_f64 v[63:64], v[105:106], v[63:64]
	v_mul_f64 v[95:96], v[14:15], s[34:35]
	v_mul_f64 v[105:106], v[12:13], s[34:35]
	s_mov_b32 s42, s20
	v_add_f64 v[59:60], v[99:100], v[59:60]
	v_fma_f64 v[99:100], v[42:43], s[14:15], -v[109:110]
	v_fma_f64 v[113:114], v[40:41], s[14:15], v[111:112]
	v_add_f64 v[67:68], v[88:89], v[67:68]
	v_add_f64 v[69:70], v[71:72], v[69:70]
	v_fma_f64 v[71:72], v[32:33], s[6:7], v[101:102]
	v_fma_f64 v[88:89], v[34:35], s[6:7], -v[103:104]
	v_fma_f64 v[117:118], v[8:9], s[28:29], -v[95:96]
	v_fma_f64 v[119:120], v[10:11], s[28:29], v[105:106]
	v_mul_f64 v[121:122], v[22:23], s[42:43]
	v_mul_f64 v[128:129], v[20:21], s[42:43]
	v_add_f64 v[100:101], v[99:100], v[59:60]
	v_add_f64 v[102:103], v[113:114], v[63:64]
	v_add_f64 v[59:60], v[71:72], v[67:68]
	v_add_f64 v[63:64], v[88:89], v[69:70]
	v_add_f64 v[65:66], v[117:118], v[65:66]
	v_add_f64 v[67:68], v[119:120], v[97:98]
	v_fma_f64 v[69:70], v[16:17], s[10:11], -v[121:122]
	v_fma_f64 v[71:72], v[18:19], s[10:11], v[128:129]
	v_mul_f64 v[88:89], v[30:31], s[24:25]
	v_mul_f64 v[97:98], v[28:29], s[24:25]
	v_fma_f64 v[95:96], v[8:9], s[28:29], v[95:96]
	v_fma_f64 v[104:105], v[10:11], s[28:29], -v[105:106]
	v_fma_f64 v[109:110], v[42:43], s[14:15], v[109:110]
	v_fma_f64 v[111:112], v[40:41], s[14:15], -v[111:112]
	v_add_f64 v[65:66], v[69:70], v[65:66]
	v_add_f64 v[67:68], v[71:72], v[67:68]
	v_fma_f64 v[69:70], v[24:25], s[14:15], -v[88:89]
	v_fma_f64 v[71:72], v[26:27], s[14:15], v[97:98]
	v_mul_f64 v[113:114], v[38:39], s[30:31]
	v_mul_f64 v[117:118], v[36:37], s[30:31]
	v_add_f64 v[61:62], v[95:96], v[61:62]
	v_add_f64 v[73:74], v[104:105], v[73:74]
	v_fma_f64 v[95:96], v[16:17], s[10:11], v[121:122]
	v_fma_f64 v[104:105], v[18:19], s[10:11], -v[128:129]
	v_add_f64 v[65:66], v[69:70], v[65:66]
	v_add_f64 v[67:68], v[71:72], v[67:68]
	v_fma_f64 v[69:70], v[32:33], s[12:13], -v[113:114]
	v_fma_f64 v[71:72], v[34:35], s[12:13], v[117:118]
	v_add_f64 v[148:149], v[109:110], v[59:60]
	v_add_f64 v[150:151], v[111:112], v[63:64]
	;; [unrolled: 1-line block ×4, first 2 shown]
	v_fma_f64 v[63:64], v[24:25], s[14:15], v[88:89]
	v_fma_f64 v[73:74], v[26:27], s[14:15], -v[97:98]
	v_mul_f64 v[88:89], v[14:15], s[40:41]
	v_mul_f64 v[95:96], v[12:13], s[40:41]
	v_add_f64 v[65:66], v[69:70], v[65:66]
	v_add_f64 v[67:68], v[71:72], v[67:68]
	v_mul_f64 v[69:70], v[46:47], s[26:27]
	v_mul_f64 v[71:72], v[44:45], s[26:27]
	v_add_f64 v[59:60], v[63:64], v[59:60]
	v_add_f64 v[61:62], v[73:74], v[61:62]
	v_fma_f64 v[63:64], v[32:33], s[12:13], v[113:114]
	v_fma_f64 v[73:74], v[34:35], s[12:13], -v[117:118]
	v_fma_f64 v[109:110], v[8:9], s[22:23], -v[88:89]
	v_fma_f64 v[111:112], v[10:11], s[22:23], v[95:96]
	v_mul_f64 v[113:114], v[22:23], s[24:25]
	v_mul_f64 v[117:118], v[20:21], s[24:25]
	v_fma_f64 v[97:98], v[42:43], s[22:23], -v[69:70]
	v_fma_f64 v[104:105], v[40:41], s[22:23], v[71:72]
	v_add_f64 v[59:60], v[63:64], v[59:60]
	v_add_f64 v[61:62], v[73:74], v[61:62]
	v_fma_f64 v[63:64], v[42:43], s[22:23], v[69:70]
	v_fma_f64 v[69:70], v[40:41], s[22:23], -v[71:72]
	v_add_f64 v[71:72], v[109:110], v[79:80]
	v_add_f64 v[73:74], v[111:112], v[107:108]
	v_fma_f64 v[79:80], v[16:17], s[14:15], -v[113:114]
	v_fma_f64 v[106:107], v[18:19], s[14:15], v[117:118]
	v_mul_f64 v[108:109], v[30:31], s[38:39]
	v_mul_f64 v[110:111], v[28:29], s[38:39]
	s_mov_b32 s39, 0x3fcea1e5
	s_mov_b32 s38, s34
	v_add_f64 v[136:137], v[97:98], v[65:66]
	v_add_f64 v[138:139], v[104:105], v[67:68]
	;; [unrolled: 1-line block ×6, first 2 shown]
	v_fma_f64 v[63:64], v[24:25], s[6:7], -v[108:109]
	v_fma_f64 v[65:66], v[26:27], s[6:7], v[110:111]
	v_fma_f64 v[67:68], v[8:9], s[22:23], v[88:89]
	v_fma_f64 v[69:70], v[10:11], s[22:23], -v[95:96]
	v_mul_f64 v[71:72], v[38:39], s[38:39]
	v_mul_f64 v[73:74], v[36:37], s[38:39]
	s_mov_b32 s35, 0x3fea55e2
	s_mov_b32 s34, s30
	v_add_f64 v[59:60], v[63:64], v[59:60]
	v_add_f64 v[61:62], v[65:66], v[61:62]
	;; [unrolled: 1-line block ×4, first 2 shown]
	v_fma_f64 v[67:68], v[16:17], s[14:15], v[113:114]
	v_fma_f64 v[69:70], v[18:19], s[14:15], -v[117:118]
	v_fma_f64 v[75:76], v[32:33], s[28:29], -v[71:72]
	v_fma_f64 v[79:80], v[34:35], s[28:29], v[73:74]
	v_mul_f64 v[88:89], v[46:47], s[34:35]
	v_mul_f64 v[90:91], v[44:45], s[34:35]
	;; [unrolled: 1-line block ×4, first 2 shown]
	v_add_f64 v[63:64], v[67:68], v[63:64]
	v_add_f64 v[65:66], v[69:70], v[65:66]
	v_fma_f64 v[67:68], v[24:25], s[6:7], v[108:109]
	v_fma_f64 v[69:70], v[26:27], s[6:7], -v[110:111]
	v_add_f64 v[59:60], v[75:76], v[59:60]
	v_add_f64 v[61:62], v[79:80], v[61:62]
	v_mul_f64 v[75:76], v[14:15], s[36:37]
	v_mul_f64 v[79:80], v[12:13], s[36:37]
	v_fma_f64 v[95:96], v[42:43], s[12:13], -v[88:89]
	v_fma_f64 v[97:98], v[40:41], s[12:13], v[90:91]
	v_add_f64 v[63:64], v[67:68], v[63:64]
	v_add_f64 v[65:66], v[69:70], v[65:66]
	v_fma_f64 v[67:68], v[32:33], s[28:29], v[71:72]
	v_fma_f64 v[69:70], v[34:35], s[28:29], -v[73:74]
	v_fma_f64 v[71:72], v[8:9], s[6:7], -v[75:76]
	v_fma_f64 v[73:74], v[10:11], s[6:7], v[79:80]
	v_fma_f64 v[75:76], v[8:9], s[6:7], v[75:76]
	v_fma_f64 v[79:80], v[10:11], s[6:7], -v[79:80]
	v_add_f64 v[120:121], v[95:96], v[59:60]
	v_add_f64 v[122:123], v[97:98], v[61:62]
	;; [unrolled: 1-line block ×6, first 2 shown]
	v_fma_f64 v[67:68], v[16:17], s[12:13], -v[104:105]
	v_fma_f64 v[69:70], v[18:19], s[12:13], v[106:107]
	v_mul_f64 v[71:72], v[30:31], s[38:39]
	v_mul_f64 v[73:74], v[28:29], s[38:39]
	v_fma_f64 v[81:82], v[42:43], s[12:13], v[88:89]
	v_fma_f64 v[88:89], v[40:41], s[12:13], -v[90:91]
	v_add_f64 v[75:76], v[75:76], v[77:78]
	v_add_f64 v[77:78], v[79:80], v[93:94]
	v_fma_f64 v[79:80], v[16:17], s[12:13], v[104:105]
	v_fma_f64 v[92:93], v[18:19], s[12:13], -v[106:107]
	v_add_f64 v[63:64], v[67:68], v[63:64]
	v_add_f64 v[65:66], v[69:70], v[65:66]
	v_fma_f64 v[67:68], v[24:25], s[28:29], -v[71:72]
	v_fma_f64 v[69:70], v[26:27], s[28:29], v[73:74]
	v_mul_f64 v[90:91], v[38:39], s[24:25]
	v_mul_f64 v[95:96], v[36:37], s[24:25]
	v_add_f64 v[172:173], v[81:82], v[59:60]
	v_add_f64 v[174:175], v[88:89], v[61:62]
	;; [unrolled: 1-line block ×4, first 2 shown]
	v_fma_f64 v[71:72], v[24:25], s[28:29], v[71:72]
	v_fma_f64 v[73:74], v[26:27], s[28:29], -v[73:74]
	v_mul_f64 v[14:15], v[14:15], s[24:25]
	v_mul_f64 v[12:13], v[12:13], s[24:25]
	;; [unrolled: 1-line block ×6, first 2 shown]
	v_add_f64 v[59:60], v[71:72], v[59:60]
	v_add_f64 v[61:62], v[73:74], v[61:62]
	v_fma_f64 v[71:72], v[32:33], s[14:15], v[90:91]
	v_fma_f64 v[73:74], v[34:35], s[14:15], -v[95:96]
	v_fma_f64 v[79:80], v[8:9], s[14:15], -v[14:15]
	v_fma_f64 v[81:82], v[10:11], s[14:15], v[12:13]
	v_fma_f64 v[8:9], v[8:9], s[14:15], v[14:15]
	v_fma_f64 v[10:11], v[10:11], s[14:15], -v[12:13]
	v_add_f64 v[63:64], v[67:68], v[63:64]
	v_add_f64 v[65:66], v[69:70], v[65:66]
	;; [unrolled: 1-line block ×6, first 2 shown]
	v_fma_f64 v[71:72], v[16:17], s[22:23], -v[22:23]
	v_fma_f64 v[73:74], v[18:19], s[22:23], v[20:21]
	v_add_f64 v[4:5], v[8:9], v[4:5]
	v_add_f64 v[6:7], v[10:11], v[6:7]
	v_fma_f64 v[8:9], v[16:17], s[22:23], v[22:23]
	v_fma_f64 v[10:11], v[18:19], s[22:23], -v[20:21]
	v_fma_f64 v[67:68], v[32:33], s[14:15], -v[90:91]
	v_fma_f64 v[69:70], v[34:35], s[14:15], v[95:96]
	v_add_f64 v[12:13], v[71:72], v[12:13]
	v_add_f64 v[14:15], v[73:74], v[14:15]
	v_fma_f64 v[16:17], v[24:25], s[12:13], -v[30:31]
	v_fma_f64 v[18:19], v[26:27], s[12:13], v[28:29]
	v_mul_f64 v[20:21], v[38:39], s[20:21]
	v_mul_f64 v[22:23], v[36:37], s[20:21]
	v_add_f64 v[4:5], v[8:9], v[4:5]
	v_add_f64 v[6:7], v[10:11], v[6:7]
	v_fma_f64 v[8:9], v[24:25], s[12:13], v[30:31]
	v_fma_f64 v[10:11], v[26:27], s[12:13], -v[28:29]
	v_add_f64 v[63:64], v[67:68], v[63:64]
	v_add_f64 v[65:66], v[69:70], v[65:66]
	v_mul_f64 v[67:68], v[46:47], s[20:21]
	v_mul_f64 v[69:70], v[44:45], s[20:21]
	v_add_f64 v[12:13], v[16:17], v[12:13]
	v_add_f64 v[14:15], v[18:19], v[14:15]
	v_fma_f64 v[16:17], v[32:33], s[10:11], -v[20:21]
	v_fma_f64 v[18:19], v[34:35], s[10:11], v[22:23]
	v_mul_f64 v[24:25], v[46:47], s[36:37]
	v_mul_f64 v[26:27], v[44:45], s[36:37]
	v_add_f64 v[4:5], v[8:9], v[4:5]
	v_add_f64 v[6:7], v[10:11], v[6:7]
	v_fma_f64 v[8:9], v[32:33], s[10:11], v[20:21]
	v_fma_f64 v[10:11], v[34:35], s[10:11], -v[22:23]
	v_fma_f64 v[75:76], v[42:43], s[10:11], -v[67:68]
	v_fma_f64 v[77:78], v[40:41], s[10:11], v[69:70]
	v_fma_f64 v[20:21], v[42:43], s[10:11], v[67:68]
	v_fma_f64 v[22:23], v[40:41], s[10:11], -v[69:70]
	v_add_f64 v[12:13], v[16:17], v[12:13]
	v_add_f64 v[14:15], v[18:19], v[14:15]
	v_fma_f64 v[16:17], v[42:43], s[6:7], -v[24:25]
	v_fma_f64 v[18:19], v[40:41], s[6:7], v[26:27]
	v_add_f64 v[4:5], v[8:9], v[4:5]
	v_add_f64 v[6:7], v[10:11], v[6:7]
	v_fma_f64 v[8:9], v[42:43], s[6:7], v[24:25]
	v_fma_f64 v[10:11], v[40:41], s[6:7], -v[26:27]
	v_add_f64 v[180:181], v[75:76], v[63:64]
	v_add_f64 v[182:183], v[77:78], v[65:66]
	;; [unrolled: 1-line block ×8, first 2 shown]
	s_movk_i32 s6, 0xd0
	v_mad_u32_u24 v4, v57, s6, v58
	v_cmp_gt_u32_e32 vcc, 13, v57
	s_waitcnt vmcnt(0)
	s_barrier
	ds_write_b128 v4, v[0:3]
	ds_write_b128 v4, v[84:87] offset:16
	ds_write_b128 v4, v[100:103] offset:32
	;; [unrolled: 1-line block ×12, first 2 shown]
	s_waitcnt lgkmcnt(0)
	s_barrier
	s_waitcnt lgkmcnt(0)
                                        ; implicit-def: $vgpr218_vgpr219
                                        ; implicit-def: $vgpr214_vgpr215
                                        ; implicit-def: $vgpr222_vgpr223
	s_and_saveexec_b64 s[6:7], vcc
	s_cbranch_execz .LBB0_18
; %bb.17:
	buffer_load_dword v0, off, s[44:47], 0 offset:4 ; 4-byte Folded Reload
	s_waitcnt vmcnt(0)
	ds_read_b128 v[0:3], v0
	ds_read_b128 v[84:87], v51 offset:208
	ds_read_b128 v[100:103], v51 offset:416
	ds_read_b128 v[136:139], v51 offset:624
	ds_read_b128 v[120:123], v51 offset:832
	ds_read_b128 v[180:183], v51 offset:1040
	ds_read_b128 v[176:179], v51 offset:1248
	ds_read_b128 v[188:191], v51 offset:1456
	ds_read_b128 v[184:187], v51 offset:1664
	ds_read_b128 v[172:175], v51 offset:1872
	ds_read_b128 v[152:155], v51 offset:2080
	ds_read_b128 v[148:151], v51 offset:2288
	ds_read_b128 v[52:55], v51 offset:2496
	ds_read_b128 v[216:219], v51 offset:2704
	ds_read_b128 v[212:215], v51 offset:2912
	ds_read_b128 v[220:223], v51 offset:3120
.LBB0_18:
	s_or_b64 exec, exec, s[6:7]
	v_add_u32_e32 v4, -13, v57
	v_cndmask_b32_e32 v4, v4, v57, vcc
	buffer_store_dword v4, off, s[44:47], 0 offset:24 ; 4-byte Folded Spill
	v_mul_lo_u32 v4, v4, v56
	s_add_i32 s6, 0, 0x7500
	v_mul_lo_u32 v49, v56, 13
	v_and_b32_e32 v5, 31, v4
	v_lshrrev_b32_e32 v6, 1, v4
	v_lshl_add_u32 v5, v5, 4, 0
	v_and_b32_e32 v6, 0x1f0, v6
	v_add_u32_e32 v6, s6, v6
	ds_read_b128 v[8:11], v5 offset:29952
	ds_read_b128 v[12:15], v6 offset:512
	v_lshrrev_b32_e32 v5, 6, v4
	v_and_b32_e32 v5, 0x1f0, v5
	v_add_u32_e32 v5, s6, v5
	ds_read_b128 v[16:19], v5 offset:1024
	v_add_u32_e32 v4, v4, v49
	v_and_b32_e32 v6, 31, v4
	v_lshl_add_u32 v6, v6, 4, 0
	s_waitcnt lgkmcnt(0)
	buffer_store_dword v16, off, s[44:47], 0 offset:8 ; 4-byte Folded Spill
	s_nop 0
	buffer_store_dword v17, off, s[44:47], 0 offset:12 ; 4-byte Folded Spill
	buffer_store_dword v18, off, s[44:47], 0 offset:16 ; 4-byte Folded Spill
	;; [unrolled: 1-line block ×3, first 2 shown]
	ds_read_b128 v[20:23], v6 offset:29952
	v_lshrrev_b32_e32 v5, 1, v4
	v_lshrrev_b32_e32 v6, 6, v4
	v_and_b32_e32 v5, 0x1f0, v5
	v_and_b32_e32 v6, 0x1f0, v6
	v_add_u32_e32 v5, s6, v5
	v_add_u32_e32 v6, s6, v6
	;; [unrolled: 1-line block ×3, first 2 shown]
	ds_read_b128 v[28:31], v5 offset:512
	ds_read_b128 v[16:19], v6 offset:1024
	v_and_b32_e32 v5, 31, v4
	v_lshrrev_b32_e32 v6, 1, v4
	v_lshl_add_u32 v5, v5, 4, 0
	v_and_b32_e32 v6, 0x1f0, v6
	v_add_u32_e32 v6, s6, v6
	ds_read_b128 v[32:35], v5 offset:29952
	ds_read_b128 v[36:39], v6 offset:512
	v_lshrrev_b32_e32 v5, 6, v4
	v_add_u32_e32 v50, v4, v49
	v_and_b32_e32 v5, 0x1f0, v5
	v_and_b32_e32 v4, 31, v50
	v_add_u32_e32 v5, s6, v5
	v_lshl_add_u32 v4, v4, 4, 0
	ds_read_b128 v[24:27], v5 offset:1024
	ds_read_b128 v[44:47], v4 offset:29952
	v_lshrrev_b32_e32 v4, 1, v50
	v_lshrrev_b32_e32 v5, 6, v50
	v_add_u32_e32 v50, v50, v49
	v_and_b32_e32 v4, 0x1f0, v4
	v_and_b32_e32 v5, 0x1f0, v5
	;; [unrolled: 1-line block ×3, first 2 shown]
	v_lshrrev_b32_e32 v57, 1, v50
	v_add_u32_e32 v4, s6, v4
	v_add_u32_e32 v40, s6, v5
	v_lshl_add_u32 v56, v56, 4, 0
	v_and_b32_e32 v57, 0x1f0, v57
	ds_read_b128 v[4:7], v4 offset:512
	ds_read_b128 v[40:43], v40 offset:1024
	v_add_u32_e32 v57, s6, v57
	ds_read_b128 v[64:67], v56 offset:29952
	ds_read_b128 v[68:71], v57 offset:512
	v_lshrrev_b32_e32 v56, 6, v50
	v_add_u32_e32 v50, v50, v49
	v_and_b32_e32 v56, 0x1f0, v56
	v_and_b32_e32 v57, 31, v50
	v_add_u32_e32 v56, s6, v56
	v_lshl_add_u32 v60, v57, 4, 0
	ds_read_b128 v[56:59], v56 offset:1024
	ds_read_b128 v[72:75], v60 offset:29952
	v_lshrrev_b32_e32 v60, 1, v50
	v_lshrrev_b32_e32 v61, 6, v50
	v_add_u32_e32 v50, v50, v49
	v_and_b32_e32 v60, 0x1f0, v60
	v_and_b32_e32 v61, 0x1f0, v61
	v_and_b32_e32 v80, 31, v50
	v_lshrrev_b32_e32 v81, 1, v50
	v_add_u32_e32 v60, s6, v60
	v_add_u32_e32 v61, s6, v61
	v_lshl_add_u32 v80, v80, 4, 0
	v_and_b32_e32 v81, 0x1f0, v81
	ds_read_b128 v[76:79], v60 offset:512
	ds_read_b128 v[60:63], v61 offset:1024
	v_add_u32_e32 v81, s6, v81
	ds_read_b128 v[88:91], v80 offset:29952
	ds_read_b128 v[92:95], v81 offset:512
	v_lshrrev_b32_e32 v80, 6, v50
	v_add_u32_e32 v50, v50, v49
	v_and_b32_e32 v80, 0x1f0, v80
	v_and_b32_e32 v81, 31, v50
	v_add_u32_e32 v80, s6, v80
	v_lshl_add_u32 v96, v81, 4, 0
	ds_read_b128 v[80:83], v80 offset:1024
	ds_read_b128 v[104:107], v96 offset:29952
	v_lshrrev_b32_e32 v96, 1, v50
	v_lshrrev_b32_e32 v97, 6, v50
	v_add_u32_e32 v50, v50, v49
	v_and_b32_e32 v112, 31, v50
	v_lshrrev_b32_e32 v113, 1, v50
	v_lshrrev_b32_e32 v114, 6, v50
	v_add_u32_e32 v50, v50, v49
	v_and_b32_e32 v115, 31, v50
	v_lshl_add_u32 v116, v115, 4, 0
	v_lshrrev_b32_e32 v115, 1, v50
	v_and_b32_e32 v115, 0x1f0, v115
	v_add_u32_e32 v117, s6, v115
	v_lshrrev_b32_e32 v115, 6, v50
	v_and_b32_e32 v115, 0x1f0, v115
	v_add_u32_e32 v50, v50, v49
	v_add_u32_e32 v118, s6, v115
	v_and_b32_e32 v115, 31, v50
	v_lshl_add_u32 v144, v115, 4, 0
	v_lshrrev_b32_e32 v115, 1, v50
	v_and_b32_e32 v115, 0x1f0, v115
	v_add_u32_e32 v145, s6, v115
	v_lshrrev_b32_e32 v115, 6, v50
	v_and_b32_e32 v115, 0x1f0, v115
	v_add_u32_e32 v50, v50, v49
	;; [unrolled: 9-line block ×6, first 2 shown]
	v_add_u32_e32 v226, s6, v115
	v_lshrrev_b32_e32 v115, 1, v49
	v_and_b32_e32 v96, 0x1f0, v96
	v_and_b32_e32 v97, 0x1f0, v97
	;; [unrolled: 1-line block ×6, first 2 shown]
	v_lshrrev_b32_e32 v49, 6, v49
	v_add_u32_e32 v96, s6, v96
	v_add_u32_e32 v97, s6, v97
	v_lshl_add_u32 v112, v112, 4, 0
	v_add_u32_e32 v113, s6, v113
	v_add_u32_e32 v114, s6, v114
	;; [unrolled: 1-line block ×3, first 2 shown]
	v_and_b32_e32 v49, 0x1f0, v49
	ds_read_b128 v[108:111], v96 offset:512
	ds_read_b128 v[96:99], v97 offset:1024
	v_lshl_add_u32 v50, v50, 4, 0
	v_add_u32_e32 v49, s6, v49
	ds_read_b128 v[124:127], v112 offset:29952
	ds_read_b128 v[128:131], v113 offset:512
	;; [unrolled: 1-line block ×24, first 2 shown]
	s_waitcnt vmcnt(0) lgkmcnt(0)
	s_barrier
	s_and_saveexec_b64 s[6:7], vcc
	s_cbranch_execz .LBB0_20
; %bb.19:
	v_mul_f64 v[49:50], v[250:251], v[254:255]
	s_mov_b32 s15, 0xbfe6a09e
	s_mov_b32 s20, 0xcf328d46
	;; [unrolled: 1-line block ×7, first 2 shown]
	v_fma_f64 v[49:50], v[248:249], v[252:253], -v[49:50]
	v_mul_f64 v[248:249], v[248:249], v[254:255]
	s_mov_b32 s23, 0xbfed906b
	s_mov_b32 s22, s20
	v_fma_f64 v[248:249], v[250:251], v[252:253], v[248:249]
	v_mul_f64 v[250:251], v[242:243], v[246:247]
	v_fma_f64 v[250:251], v[240:241], v[244:245], -v[250:251]
	v_mul_f64 v[240:241], v[240:241], v[246:247]
	v_fma_f64 v[246:247], v[242:243], v[244:245], v[240:241]
	buffer_load_dword v240, off, s[44:47], 0 offset:24 ; 4-byte Folded Reload
	v_mov_b32_e32 v241, 0
	v_mov_b32_e32 v242, s9
	s_waitcnt vmcnt(0)
	v_mul_i32_i24_e32 v240, 15, v240
	v_lshlrev_b64 v[240:241], 4, v[240:241]
	v_add_co_u32_e32 v252, vcc, s8, v240
	v_addc_co_u32_e32 v253, vcc, v242, v241, vcc
	global_load_dwordx4 v[242:245], v[252:253], off offset:32
	s_mov_b32 s8, 0x667f3bcd
	s_mov_b32 s9, 0x3fe6a09e
	;; [unrolled: 1-line block ×3, first 2 shown]
	s_waitcnt vmcnt(0)
	v_mul_f64 v[240:241], v[138:139], v[244:245]
	v_fma_f64 v[240:241], v[136:137], v[242:243], -v[240:241]
	v_mul_f64 v[136:137], v[136:137], v[244:245]
	v_fma_f64 v[136:137], v[138:139], v[242:243], v[136:137]
	global_load_dwordx4 v[242:245], v[252:253], off offset:160
	s_waitcnt vmcnt(0)
	v_mul_f64 v[138:139], v[150:151], v[244:245]
	v_fma_f64 v[254:255], v[148:149], v[242:243], -v[138:139]
	v_mul_f64 v[138:139], v[148:149], v[244:245]
	v_fma_f64 v[138:139], v[150:151], v[242:243], v[138:139]
	buffer_store_dword v138, off, s[44:47], 0 offset:24 ; 4-byte Folded Spill
	s_nop 0
	buffer_store_dword v139, off, s[44:47], 0 offset:28 ; 4-byte Folded Spill
	global_load_dwordx4 v[242:245], v[252:253], off offset:96
	s_waitcnt vmcnt(0)
	v_mul_f64 v[138:139], v[188:189], v[244:245]
	v_fma_f64 v[150:151], v[190:191], v[242:243], v[138:139]
	v_mul_f64 v[138:139], v[190:191], v[244:245]
	v_fma_f64 v[138:139], v[188:189], v[242:243], -v[138:139]
	global_load_dwordx4 v[188:191], v[252:253], off offset:224
	s_waitcnt vmcnt(0)
	v_mul_f64 v[148:149], v[220:221], v[190:191]
	v_fma_f64 v[242:243], v[222:223], v[188:189], v[148:149]
	v_mul_f64 v[148:149], v[222:223], v[190:191]
	v_fma_f64 v[220:221], v[220:221], v[188:189], -v[148:149]
	global_load_dwordx4 v[188:191], v[252:253], off
	v_add_f64 v[220:221], v[138:139], -v[220:221]
	v_fma_f64 v[138:139], v[138:139], 2.0, -v[220:221]
	s_waitcnt vmcnt(0)
	v_mul_f64 v[148:149], v[86:87], v[190:191]
	v_fma_f64 v[148:149], v[84:85], v[188:189], -v[148:149]
	v_mul_f64 v[84:85], v[84:85], v[190:191]
	v_fma_f64 v[84:85], v[86:87], v[188:189], v[84:85]
	global_load_dwordx4 v[188:191], v[252:253], off offset:128
	s_waitcnt vmcnt(0)
	v_mul_f64 v[86:87], v[174:175], v[190:191]
	v_fma_f64 v[222:223], v[172:173], v[188:189], -v[86:87]
	v_mul_f64 v[86:87], v[172:173], v[190:191]
	v_add_f64 v[222:223], v[148:149], -v[222:223]
	v_fma_f64 v[244:245], v[174:175], v[188:189], v[86:87]
	global_load_dwordx4 v[188:191], v[252:253], off offset:64
	v_fma_f64 v[148:149], v[148:149], 2.0, -v[222:223]
	s_waitcnt vmcnt(0)
	v_mul_f64 v[86:87], v[180:181], v[190:191]
	v_fma_f64 v[172:173], v[182:183], v[188:189], v[86:87]
	v_mul_f64 v[86:87], v[182:183], v[190:191]
	v_fma_f64 v[174:175], v[180:181], v[188:189], -v[86:87]
	global_load_dwordx4 v[180:183], v[252:253], off offset:192
	s_waitcnt vmcnt(0)
	v_mul_f64 v[86:87], v[216:217], v[182:183]
	v_fma_f64 v[188:189], v[218:219], v[180:181], v[86:87]
	v_mul_f64 v[86:87], v[218:219], v[182:183]
	v_mul_f64 v[218:219], v[250:251], v[226:227]
	v_add_f64 v[188:189], v[172:173], -v[188:189]
	v_fma_f64 v[190:191], v[216:217], v[180:181], -v[86:87]
	global_load_dwordx4 v[180:183], v[252:253], off offset:16
	v_fma_f64 v[218:219], v[224:225], v[246:247], v[218:219]
	v_add_f64 v[190:191], v[174:175], -v[190:191]
	s_waitcnt vmcnt(0)
	v_mul_f64 v[86:87], v[102:103], v[182:183]
	v_fma_f64 v[86:87], v[100:101], v[180:181], -v[86:87]
	v_mul_f64 v[100:101], v[100:101], v[182:183]
	v_fma_f64 v[102:103], v[102:103], v[180:181], v[100:101]
	global_load_dwordx4 v[180:183], v[252:253], off offset:144
	s_waitcnt vmcnt(0)
	v_mul_f64 v[100:101], v[154:155], v[182:183]
	v_fma_f64 v[216:217], v[152:153], v[180:181], -v[100:101]
	v_mul_f64 v[100:101], v[152:153], v[182:183]
	v_fma_f64 v[154:155], v[154:155], v[180:181], v[100:101]
	global_load_dwordx4 v[180:183], v[252:253], off offset:80
	v_add_f64 v[154:155], v[102:103], -v[154:155]
	v_fma_f64 v[102:103], v[102:103], 2.0, -v[154:155]
	s_waitcnt vmcnt(0)
	v_mul_f64 v[100:101], v[176:177], v[182:183]
	v_fma_f64 v[152:153], v[178:179], v[180:181], v[100:101]
	v_mul_f64 v[100:101], v[178:179], v[182:183]
	v_fma_f64 v[100:101], v[176:177], v[180:181], -v[100:101]
	global_load_dwordx4 v[176:179], v[252:253], off offset:208
	s_waitcnt vmcnt(0)
	v_mul_f64 v[180:181], v[212:213], v[178:179]
	v_mul_f64 v[178:179], v[214:215], v[178:179]
	v_fma_f64 v[180:181], v[214:215], v[176:177], v[180:181]
	v_fma_f64 v[182:183], v[212:213], v[176:177], -v[178:179]
	global_load_dwordx4 v[176:179], v[252:253], off offset:112
	v_mul_f64 v[214:215], v[246:247], v[226:227]
	v_add_f64 v[226:227], v[240:241], -v[254:255]
	v_add_f64 v[180:181], v[152:153], -v[180:181]
	v_add_f64 v[182:183], v[100:101], -v[182:183]
	v_fma_f64 v[214:215], v[224:225], v[250:251], -v[214:215]
	v_mul_f64 v[224:225], v[206:207], v[210:211]
	v_mul_f64 v[210:211], v[204:205], v[210:211]
	v_fma_f64 v[152:153], v[152:153], 2.0, -v[180:181]
	v_fma_f64 v[204:205], v[204:205], v[208:209], -v[224:225]
	v_fma_f64 v[206:207], v[206:207], v[208:209], v[210:211]
	v_mul_f64 v[208:209], v[198:199], v[202:203]
	v_mul_f64 v[202:203], v[196:197], v[202:203]
	v_add_f64 v[210:211], v[222:223], -v[188:189]
	v_add_f64 v[152:153], v[102:103], -v[152:153]
	v_fma_f64 v[196:197], v[196:197], v[200:201], -v[208:209]
	v_fma_f64 v[198:199], v[198:199], v[200:201], v[202:203]
	v_add_f64 v[208:209], v[86:87], -v[216:217]
	v_fma_f64 v[222:223], v[222:223], 2.0, -v[210:211]
	v_fma_f64 v[102:103], v[102:103], 2.0, -v[152:153]
	v_fma_f64 v[86:87], v[86:87], 2.0, -v[208:209]
	s_waitcnt vmcnt(0)
	v_mul_f64 v[212:213], v[184:185], v[178:179]
	v_mul_f64 v[178:179], v[186:187], v[178:179]
	v_fma_f64 v[212:213], v[186:187], v[176:177], v[212:213]
	v_fma_f64 v[184:185], v[184:185], v[176:177], -v[178:179]
	global_load_dwordx4 v[176:179], v[252:253], off offset:48
	v_add_f64 v[212:213], v[2:3], -v[212:213]
	v_add_f64 v[184:185], v[0:1], -v[184:185]
	s_waitcnt vmcnt(0)
	v_mul_f64 v[186:187], v[122:123], v[178:179]
	v_fma_f64 v[186:187], v[120:121], v[176:177], -v[186:187]
	v_mul_f64 v[120:121], v[120:121], v[178:179]
	v_fma_f64 v[176:177], v[122:123], v[176:177], v[120:121]
	global_load_dwordx4 v[120:123], v[252:253], off offset:176
	s_waitcnt vmcnt(0)
	v_mul_f64 v[178:179], v[54:55], v[122:123]
	v_fma_f64 v[178:179], v[52:53], v[120:121], -v[178:179]
	v_mul_f64 v[52:53], v[52:53], v[122:123]
	v_mul_f64 v[122:123], v[248:249], v[238:239]
	v_add_f64 v[178:179], v[186:187], -v[178:179]
	v_fma_f64 v[52:53], v[54:55], v[120:121], v[52:53]
	v_mul_f64 v[120:121], v[228:229], v[234:235]
	v_mul_f64 v[54:55], v[230:231], v[234:235]
	v_fma_f64 v[122:123], v[236:237], v[49:50], -v[122:123]
	v_mul_f64 v[49:50], v[49:50], v[238:239]
	v_add_f64 v[246:247], v[212:213], v[178:179]
	v_add_f64 v[216:217], v[176:177], -v[52:53]
	v_fma_f64 v[120:121], v[230:231], v[232:233], v[120:121]
	buffer_load_dword v230, off, s[44:47], 0 offset:24 ; 4-byte Folded Reload
	buffer_load_dword v231, off, s[44:47], 0 offset:28 ; 4-byte Folded Reload
	v_fma_f64 v[54:55], v[228:229], v[232:233], -v[54:55]
	v_add_f64 v[228:229], v[150:151], -v[242:243]
	v_add_f64 v[232:233], v[84:85], -v[244:245]
	v_fma_f64 v[49:50], v[236:237], v[248:249], v[49:50]
	v_add_f64 v[242:243], v[154:155], v[182:183]
	v_mul_f64 v[200:201], v[120:121], v[194:195]
	v_mul_f64 v[194:195], v[54:55], v[194:195]
	v_add_f64 v[224:225], v[226:227], -v[228:229]
	v_add_f64 v[202:203], v[232:233], v[190:191]
	v_fma_f64 v[84:85], v[84:85], 2.0, -v[232:233]
	v_fma_f64 v[154:155], v[154:155], 2.0, -v[242:243]
	v_fma_f64 v[200:201], v[192:193], v[54:55], -v[200:201]
	v_fma_f64 v[120:121], v[192:193], v[120:121], v[194:195]
	v_fma_f64 v[52:53], v[224:225], s[8:9], v[210:211]
	v_add_f64 v[192:193], v[208:209], -v[180:181]
	v_add_f64 v[194:195], v[184:185], -v[216:217]
	v_fma_f64 v[180:181], v[2:3], 2.0, -v[212:213]
	v_fma_f64 v[2:3], v[176:177], 2.0, -v[216:217]
	;; [unrolled: 1-line block ×3, first 2 shown]
	s_waitcnt vmcnt(0)
	v_add_f64 v[230:231], v[136:137], -v[230:231]
	v_add_f64 v[234:235], v[230:231], v[220:221]
	v_fma_f64 v[136:137], v[136:137], 2.0, -v[230:231]
	v_fma_f64 v[236:237], v[234:235], s[14:15], v[52:53]
	v_fma_f64 v[52:53], v[192:193], s[8:9], v[194:195]
	;; [unrolled: 1-line block ×8, first 2 shown]
	v_fma_f64 v[192:193], v[208:209], 2.0, -v[192:193]
	v_fma_f64 v[250:251], v[238:239], s[10:11], v[52:53]
	v_fma_f64 v[52:53], v[238:239], s[20:21], v[248:249]
	;; [unrolled: 1-line block ×3, first 2 shown]
	v_mul_f64 v[52:53], v[250:251], v[49:50]
	v_mul_f64 v[49:50], v[252:253], v[49:50]
	v_fma_f64 v[54:55], v[252:253], v[122:123], v[52:53]
	v_fma_f64 v[52:53], v[250:251], v[122:123], -v[49:50]
	v_fma_f64 v[49:50], v[174:175], 2.0, -v[190:191]
	v_fma_f64 v[122:123], v[150:151], 2.0, -v[228:229]
	;; [unrolled: 1-line block ×7, first 2 shown]
	v_add_f64 v[188:189], v[180:181], -v[2:3]
	v_add_f64 v[49:50], v[148:149], -v[49:50]
	;; [unrolled: 1-line block ×4, first 2 shown]
	v_fma_f64 v[184:185], v[184:185], 2.0, -v[194:195]
	v_add_f64 v[172:173], v[174:175], -v[172:173]
	v_add_f64 v[138:139], v[178:179], -v[138:139]
	;; [unrolled: 1-line block ×3, first 2 shown]
	v_fma_f64 v[180:181], v[180:181], 2.0, -v[188:189]
	v_fma_f64 v[148:149], v[148:149], 2.0, -v[49:50]
	v_add_f64 v[100:101], v[49:50], -v[122:123]
	v_fma_f64 v[122:123], v[136:137], 2.0, -v[122:123]
	v_fma_f64 v[208:209], v[192:193], s[14:15], v[184:185]
	v_add_f64 v[176:177], v[172:173], -v[152:153]
	v_add_f64 v[182:183], v[150:151], v[138:139]
	v_add_f64 v[216:217], v[188:189], v[186:187]
	v_fma_f64 v[152:153], v[84:85], 2.0, -v[150:151]
	v_fma_f64 v[138:139], v[178:179], 2.0, -v[138:139]
	;; [unrolled: 1-line block ×4, first 2 shown]
	v_fma_f64 v[208:209], v[154:155], s[14:15], v[208:209]
	v_fma_f64 v[0:1], v[100:101], s[8:9], v[176:177]
	;; [unrolled: 1-line block ×3, first 2 shown]
	v_fma_f64 v[194:195], v[194:195], 2.0, -v[244:245]
	v_mul_f64 v[84:85], v[204:205], v[170:171]
	v_add_f64 v[138:139], v[148:149], -v[138:139]
	v_mul_f64 v[170:171], v[206:207], v[170:171]
	v_add_f64 v[186:187], v[136:137], -v[86:87]
	v_fma_f64 v[49:50], v[49:50], 2.0, -v[100:101]
	v_fma_f64 v[190:191], v[182:183], s[14:15], v[0:1]
	v_fma_f64 v[0:1], v[182:183], s[8:9], v[216:217]
	;; [unrolled: 1-line block ×4, first 2 shown]
	v_fma_f64 v[188:189], v[188:189], 2.0, -v[216:217]
	v_fma_f64 v[168:169], v[168:169], v[204:205], -v[170:171]
	v_mul_f64 v[170:171], v[196:197], v[166:167]
	v_fma_f64 v[150:151], v[150:151], 2.0, -v[182:183]
	v_fma_f64 v[172:173], v[172:173], 2.0, -v[176:177]
	v_fma_f64 v[220:221], v[100:101], s[8:9], v[0:1]
	v_mul_f64 v[0:1], v[190:191], v[218:219]
	v_mul_f64 v[100:101], v[158:159], v[162:163]
	;; [unrolled: 1-line block ×4, first 2 shown]
	v_fma_f64 v[170:171], v[164:165], v[198:199], v[170:171]
	v_fma_f64 v[136:137], v[136:137], 2.0, -v[186:187]
	v_mul_f64 v[218:219], v[220:221], v[218:219]
	v_fma_f64 v[2:3], v[220:221], v[214:215], v[0:1]
	v_fma_f64 v[156:157], v[156:157], v[160:161], -v[100:101]
	v_fma_f64 v[158:159], v[158:159], v[160:161], v[162:163]
	v_fma_f64 v[160:161], v[49:50], s[14:15], v[172:173]
	v_fma_f64 v[164:165], v[164:165], v[196:197], -v[166:167]
	v_fma_f64 v[0:1], v[190:191], v[214:215], -v[218:219]
	v_fma_f64 v[214:215], v[226:227], 2.0, -v[224:225]
	v_fma_f64 v[218:219], v[230:231], 2.0, -v[234:235]
	;; [unrolled: 1-line block ×3, first 2 shown]
	v_mul_f64 v[162:163], v[156:157], v[146:147]
	v_fma_f64 v[226:227], v[214:215], s[14:15], v[222:223]
	v_fma_f64 v[226:227], v[218:219], s[14:15], v[226:227]
	;; [unrolled: 1-line block ×5, first 2 shown]
	v_fma_f64 v[218:219], v[246:247], 2.0, -v[248:249]
	v_fma_f64 v[178:179], v[214:215], s[12:13], v[154:155]
	v_fma_f64 v[174:175], v[214:215], s[22:23], v[192:193]
	v_add_f64 v[192:193], v[152:153], -v[122:123]
	v_fma_f64 v[122:123], v[210:211], 2.0, -v[236:237]
	v_add_f64 v[210:211], v[180:181], -v[102:103]
	v_fma_f64 v[102:103], v[202:203], 2.0, -v[238:239]
	v_fma_f64 v[178:179], v[226:227], s[20:21], v[178:179]
	v_mul_f64 v[86:87], v[174:175], v[120:121]
	v_add_f64 v[206:207], v[186:187], -v[192:193]
	v_fma_f64 v[202:203], v[122:123], s[10:11], v[194:195]
	v_add_f64 v[204:205], v[210:211], v[138:139]
	v_fma_f64 v[152:153], v[152:153], 2.0, -v[192:193]
	v_mul_f64 v[120:121], v[178:179], v[120:121]
	v_fma_f64 v[86:87], v[178:179], v[200:201], v[86:87]
	v_mul_f64 v[228:229], v[206:207], v[84:85]
	v_fma_f64 v[202:203], v[102:103], s[22:23], v[202:203]
	v_fma_f64 v[102:103], v[102:103], s[10:11], v[218:219]
	v_mul_f64 v[198:199], v[204:205], v[84:85]
	v_fma_f64 v[84:85], v[174:175], v[200:201], -v[120:121]
	v_fma_f64 v[120:121], v[150:151], s[14:15], v[188:189]
	v_fma_f64 v[182:183], v[122:123], s[20:21], v[102:103]
	v_mul_f64 v[122:123], v[202:203], v[170:171]
	v_fma_f64 v[102:103], v[204:205], v[168:169], v[228:229]
	v_fma_f64 v[100:101], v[206:207], v[168:169], -v[198:199]
	v_mul_f64 v[168:169], v[134:135], v[142:143]
	v_fma_f64 v[49:50], v[49:50], s[8:9], v[120:121]
	v_mul_f64 v[120:121], v[158:159], v[146:147]
	v_fma_f64 v[146:147], v[150:151], s[14:15], v[160:161]
	;; [unrolled: 2-line block ×3, first 2 shown]
	v_fma_f64 v[158:159], v[212:213], 2.0, -v[154:155]
	v_fma_f64 v[160:161], v[224:225], 2.0, -v[214:215]
	v_mul_f64 v[142:143], v[132:133], v[142:143]
	v_fma_f64 v[122:123], v[182:183], v[164:165], v[122:123]
	v_fma_f64 v[162:163], v[222:223], 2.0, -v[226:227]
	v_fma_f64 v[170:171], v[184:185], 2.0, -v[208:209]
	v_fma_f64 v[144:145], v[144:145], v[156:157], -v[120:121]
	v_mul_f64 v[156:157], v[146:147], v[150:151]
	v_fma_f64 v[120:121], v[202:203], v[164:165], -v[166:167]
	v_fma_f64 v[164:165], v[160:161], s[22:23], v[158:159]
	v_mul_f64 v[166:167], v[126:127], v[130:131]
	v_fma_f64 v[132:133], v[132:133], v[140:141], -v[168:169]
	v_fma_f64 v[134:135], v[134:135], v[140:141], v[142:143]
	v_mul_f64 v[142:143], v[124:125], v[130:131]
	v_fma_f64 v[140:141], v[162:163], s[22:23], v[170:171]
	v_fma_f64 v[130:131], v[49:50], v[144:145], v[156:157]
	v_mul_f64 v[150:151], v[49:50], v[150:151]
	v_fma_f64 v[156:157], v[162:163], s[12:13], v[164:165]
	v_fma_f64 v[124:125], v[124:125], v[128:129], -v[166:167]
	v_mul_f64 v[162:163], v[132:133], v[118:119]
	v_mul_f64 v[118:119], v[134:135], v[118:119]
	v_fma_f64 v[126:127], v[126:127], v[128:129], v[142:143]
	v_fma_f64 v[128:129], v[148:149], 2.0, -v[138:139]
	v_mul_f64 v[138:139], v[106:107], v[110:111]
	v_fma_f64 v[140:141], v[160:161], s[10:11], v[140:141]
	v_fma_f64 v[148:149], v[180:181], 2.0, -v[210:211]
	v_mul_f64 v[142:143], v[124:125], v[114:115]
	v_fma_f64 v[134:135], v[116:117], v[134:135], v[162:163]
	v_mul_f64 v[110:111], v[104:105], v[110:111]
	v_mul_f64 v[114:115], v[126:127], v[114:115]
	v_add_f64 v[160:161], v[136:137], -v[128:129]
	v_fma_f64 v[138:139], v[104:105], v[108:109], -v[138:139]
	v_fma_f64 v[104:105], v[116:117], v[132:133], -v[118:119]
	v_fma_f64 v[132:133], v[244:245], 2.0, -v[250:251]
	v_fma_f64 v[126:127], v[112:113], v[126:127], v[142:143]
	v_mul_f64 v[116:117], v[140:141], v[134:135]
	v_mul_f64 v[118:119], v[156:157], v[134:135]
	v_fma_f64 v[108:109], v[106:107], v[108:109], v[110:111]
	v_add_f64 v[110:111], v[148:149], -v[152:153]
	v_fma_f64 v[112:113], v[112:113], v[124:125], -v[114:115]
	v_mul_f64 v[114:115], v[138:139], v[98:99]
	v_mul_f64 v[134:135], v[66:67], v[70:71]
	;; [unrolled: 1-line block ×3, first 2 shown]
	v_fma_f64 v[106:107], v[156:157], v[104:105], v[116:117]
	v_fma_f64 v[104:105], v[140:141], v[104:105], -v[118:119]
	v_mul_f64 v[116:117], v[108:109], v[98:99]
	v_mul_f64 v[118:119], v[90:91], v[94:95]
	;; [unrolled: 1-line block ×3, first 2 shown]
	v_fma_f64 v[108:109], v[96:97], v[108:109], v[114:115]
	v_mul_f64 v[114:115], v[110:111], v[126:127]
	v_mul_f64 v[126:127], v[74:75], v[78:79]
	;; [unrolled: 1-line block ×3, first 2 shown]
	v_fma_f64 v[98:99], v[110:111], v[112:113], v[124:125]
	v_fma_f64 v[116:117], v[96:97], v[138:139], -v[116:117]
	v_fma_f64 v[88:89], v[88:89], v[92:93], -v[118:119]
	v_fma_f64 v[90:91], v[90:91], v[92:93], v[94:95]
	v_mul_f64 v[94:95], v[64:65], v[70:71]
	v_fma_f64 v[64:65], v[64:65], v[68:69], -v[134:135]
	v_fma_f64 v[72:73], v[72:73], v[76:77], -v[126:127]
	v_fma_f64 v[74:75], v[74:75], v[76:77], v[78:79]
	v_fma_f64 v[96:97], v[160:161], v[112:113], -v[114:115]
	v_fma_f64 v[112:113], v[210:211], 2.0, -v[204:205]
	v_mul_f64 v[92:93], v[88:89], v[82:83]
	v_mul_f64 v[82:83], v[90:91], v[82:83]
	v_fma_f64 v[66:67], v[66:67], v[68:69], v[94:95]
	v_mul_f64 v[94:95], v[46:47], v[6:7]
	v_mul_f64 v[78:79], v[72:73], v[62:63]
	;; [unrolled: 1-line block ×3, first 2 shown]
	v_fma_f64 v[76:77], v[176:177], 2.0, -v[190:191]
	v_fma_f64 v[68:69], v[216:217], 2.0, -v[220:221]
	v_fma_f64 v[90:91], v[80:81], v[90:91], v[92:93]
	v_mul_f64 v[92:93], v[64:65], v[58:59]
	v_fma_f64 v[80:81], v[80:81], v[88:89], -v[82:83]
	v_fma_f64 v[82:83], v[208:209], 2.0, -v[174:175]
	v_fma_f64 v[74:75], v[60:61], v[74:75], v[78:79]
	v_fma_f64 v[60:61], v[60:61], v[72:73], -v[62:63]
	v_mul_f64 v[72:73], v[44:45], v[6:7]
	v_mul_f64 v[58:59], v[66:67], v[58:59]
	v_fma_f64 v[88:89], v[186:187], 2.0, -v[206:207]
	v_fma_f64 v[66:67], v[56:57], v[66:67], v[92:93]
	v_fma_f64 v[92:93], v[154:155], 2.0, -v[178:179]
	v_fma_f64 v[94:95], v[44:45], v[4:5], -v[94:95]
	v_mul_f64 v[62:63], v[82:83], v[74:75]
	v_mul_f64 v[78:79], v[76:77], v[90:91]
	v_fma_f64 v[4:5], v[46:47], v[4:5], v[72:73]
	v_fma_f64 v[56:57], v[56:57], v[64:65], -v[58:59]
	v_mul_f64 v[72:73], v[34:35], v[38:39]
	v_mul_f64 v[58:59], v[88:89], v[66:67]
	;; [unrolled: 1-line block ×4, first 2 shown]
	v_fma_f64 v[44:45], v[92:93], v[60:61], v[62:63]
	v_mul_f64 v[62:63], v[112:113], v[66:67]
	v_mul_f64 v[66:67], v[94:95], v[42:43]
	;; [unrolled: 1-line block ×5, first 2 shown]
	v_fma_f64 v[6:7], v[68:69], v[80:81], v[78:79]
	v_mul_f64 v[78:79], v[22:23], v[30:31]
	v_mul_f64 v[30:31], v[20:21], v[30:31]
	v_fma_f64 v[32:33], v[32:33], v[36:37], -v[72:73]
	v_fma_f64 v[4:5], v[40:41], v[4:5], v[66:67]
	v_fma_f64 v[40:41], v[40:41], v[94:95], -v[42:43]
	v_fma_f64 v[8:9], v[8:9], v[12:13], -v[92:93]
	buffer_load_dword v92, off, s[44:47], 0 offset:8 ; 4-byte Folded Reload
	buffer_load_dword v93, off, s[44:47], 0 offset:12 ; 4-byte Folded Reload
	;; [unrolled: 1-line block ×4, first 2 shown]
	v_fma_f64 v[34:35], v[34:35], v[36:37], v[38:39]
	v_fma_f64 v[20:21], v[20:21], v[28:29], -v[78:79]
	v_fma_f64 v[22:23], v[22:23], v[28:29], v[30:31]
	v_fma_f64 v[10:11], v[10:11], v[12:13], v[14:15]
	v_mul_f64 v[38:39], v[32:33], v[26:27]
	v_fma_f64 v[28:29], v[188:189], 2.0, -v[49:50]
	v_fma_f64 v[42:43], v[136:137], 2.0, -v[160:161]
	v_fma_f64 v[49:50], v[148:149], 2.0, -v[110:111]
	v_mul_f64 v[12:13], v[34:35], v[26:27]
	v_mul_f64 v[30:31], v[20:21], v[18:19]
	;; [unrolled: 1-line block ×3, first 2 shown]
	v_fma_f64 v[66:67], v[158:159], 2.0, -v[156:157]
	v_fma_f64 v[34:35], v[24:25], v[34:35], v[38:39]
	v_fma_f64 v[38:39], v[170:171], 2.0, -v[140:141]
	v_fma_f64 v[26:27], v[172:173], 2.0, -v[146:147]
	v_mul_f64 v[68:69], v[68:69], v[90:91]
	v_fma_f64 v[12:13], v[24:25], v[32:33], -v[12:13]
	v_fma_f64 v[22:23], v[16:17], v[22:23], v[30:31]
	v_fma_f64 v[16:17], v[16:17], v[20:21], -v[18:19]
	v_fma_f64 v[74:75], v[218:219], 2.0, -v[182:183]
	v_fma_f64 v[90:91], v[194:195], 2.0, -v[202:203]
	;; [unrolled: 1-line block ×3, first 2 shown]
	v_mul_f64 v[32:33], v[28:29], v[34:35]
	v_mul_f64 v[118:119], v[132:133], v[108:109]
	v_fma_f64 v[58:59], v[112:113], v[56:57], v[58:59]
	v_mul_f64 v[18:19], v[38:39], v[22:23]
	v_fma_f64 v[56:57], v[88:89], v[56:57], -v[62:63]
	v_fma_f64 v[128:129], v[146:147], v[144:145], -v[150:151]
	v_mul_f64 v[36:37], v[90:91], v[4:5]
	v_mul_f64 v[4:5], v[74:75], v[4:5]
	;; [unrolled: 1-line block ×3, first 2 shown]
	v_fma_f64 v[70:71], v[124:125], v[116:117], v[118:119]
	v_fma_f64 v[18:19], v[66:67], v[16:17], v[18:19]
	s_waitcnt vmcnt(0)
	v_mul_f64 v[14:15], v[8:9], v[94:95]
	v_mul_f64 v[30:31], v[10:11], v[94:95]
	v_fma_f64 v[10:11], v[92:93], v[10:11], v[14:15]
	v_fma_f64 v[8:9], v[92:93], v[8:9], -v[30:31]
	v_mul_f64 v[30:31], v[66:67], v[22:23]
	v_mul_f64 v[14:15], v[26:27], v[34:35]
	;; [unrolled: 1-line block ×4, first 2 shown]
	v_fma_f64 v[16:17], v[38:39], v[16:17], -v[30:31]
	v_fma_f64 v[14:15], v[28:29], v[12:13], v[14:15]
	v_fma_f64 v[12:13], v[26:27], v[12:13], -v[32:33]
	v_fma_f64 v[10:11], v[74:75], v[40:41], v[36:37]
	v_fma_f64 v[22:23], v[8:9], v[49:50], v[20:21]
	v_fma_f64 v[20:21], v[8:9], v[42:43], -v[24:25]
	buffer_load_dword v24, off, s[44:47], 0 offset:4 ; 4-byte Folded Reload
	v_fma_f64 v[8:9], v[90:91], v[40:41], -v[4:5]
	v_fma_f64 v[42:43], v[82:83], v[60:61], -v[46:47]
	;; [unrolled: 1-line block ×4, first 2 shown]
	s_waitcnt vmcnt(0)
	ds_write_b128 v24, v[20:23]
	ds_write_b128 v51, v[16:19] offset:208
	ds_write_b128 v51, v[12:15] offset:416
	;; [unrolled: 1-line block ×15, first 2 shown]
.LBB0_20:
	s_or_b64 exec, exec, s[6:7]
	s_waitcnt lgkmcnt(0)
	s_barrier
	s_and_saveexec_b64 s[6:7], s[0:1]
	s_cbranch_execz .LBB0_22
; %bb.21:
	buffer_load_dword v7, off, s[44:47], 0  ; 4-byte Folded Reload
	v_mad_u64_u32 v[2:3], s[0:1], s16, v48, 0
	v_or_b32_e32 v18, 32, v48
	s_waitcnt vmcnt(0)
	v_mad_u64_u32 v[0:1], s[0:1], s18, v7, 0
	v_mad_u64_u32 v[4:5], s[0:1], s19, v7, v[1:2]
	v_mov_b32_e32 v1, v3
	v_mad_u64_u32 v[5:6], s[0:1], s17, v48, v[1:2]
	s_movk_i32 s0, 0xd00
	v_mul_lo_u32 v6, v7, s0
	v_mov_b32_e32 v1, v4
	s_lshl_b64 s[0:1], s[4:5], 4
	s_add_u32 s0, s2, s0
	v_lshlrev_b64 v[0:1], 4, v[0:1]
	v_mov_b32_e32 v3, v5
	v_lshlrev_b32_e32 v4, 4, v48
	s_addc_u32 s1, s3, s1
	v_add_u32_e32 v5, 16, v48
	v_add3_u32 v15, 0, v6, v4
	v_mov_b32_e32 v4, s1
	v_add_co_u32_e32 v16, vcc, s0, v0
	v_mad_u64_u32 v[8:9], s[0:1], s16, v5, 0
	v_addc_co_u32_e32 v17, vcc, v4, v1, vcc
	v_lshlrev_b64 v[0:1], 4, v[2:3]
	v_mov_b32_e32 v4, v9
	v_add_co_u32_e32 v10, vcc, v16, v0
	v_addc_co_u32_e32 v11, vcc, v17, v1, vcc
	ds_read_b128 v[0:3], v15
	v_mad_u64_u32 v[12:13], s[0:1], s17, v5, v[4:5]
	ds_read_b128 v[4:7], v15 offset:256
	v_mad_u64_u32 v[13:14], s[0:1], s16, v18, 0
	v_mov_b32_e32 v9, v12
	s_waitcnt lgkmcnt(1)
	global_store_dwordx4 v[10:11], v[0:3], off
	s_nop 0
	v_lshlrev_b64 v[0:1], 4, v[8:9]
	v_mov_b32_e32 v2, v14
	v_mad_u64_u32 v[2:3], s[0:1], s17, v18, v[2:3]
	v_add_co_u32_e32 v0, vcc, v16, v0
	v_addc_co_u32_e32 v1, vcc, v17, v1, vcc
	s_waitcnt lgkmcnt(0)
	global_store_dwordx4 v[0:1], v[4:7], off
	v_mov_b32_e32 v14, v2
	v_add_u32_e32 v5, 48, v48
	v_mad_u64_u32 v[8:9], s[0:1], s16, v5, 0
	v_lshlrev_b64 v[0:1], 4, v[13:14]
	v_or_b32_e32 v18, 64, v48
	v_add_co_u32_e32 v10, vcc, v16, v0
	v_mov_b32_e32 v4, v9
	v_addc_co_u32_e32 v11, vcc, v17, v1, vcc
	ds_read_b128 v[0:3], v15 offset:512
	v_mad_u64_u32 v[12:13], s[0:1], s17, v5, v[4:5]
	ds_read_b128 v[4:7], v15 offset:768
	v_mad_u64_u32 v[13:14], s[0:1], s16, v18, 0
	s_waitcnt lgkmcnt(1)
	global_store_dwordx4 v[10:11], v[0:3], off
	v_mov_b32_e32 v9, v12
	v_mov_b32_e32 v2, v14
	v_mad_u64_u32 v[2:3], s[0:1], s17, v18, v[2:3]
	v_lshlrev_b64 v[0:1], 4, v[8:9]
	v_or_b32_e32 v18, 0x60, v48
	v_mov_b32_e32 v14, v2
	v_add_u32_e32 v2, 0x50, v48
	v_add_co_u32_e32 v0, vcc, v16, v0
	v_mad_u64_u32 v[8:9], s[0:1], s16, v2, 0
	v_addc_co_u32_e32 v1, vcc, v17, v1, vcc
	s_waitcnt lgkmcnt(0)
	global_store_dwordx4 v[0:1], v[4:7], off
	v_lshlrev_b64 v[0:1], 4, v[13:14]
	v_add_co_u32_e32 v10, vcc, v16, v0
	v_mov_b32_e32 v0, v9
	v_mad_u64_u32 v[12:13], s[0:1], s17, v2, v[0:1]
	v_addc_co_u32_e32 v11, vcc, v17, v1, vcc
	ds_read_b128 v[0:3], v15 offset:1024
	ds_read_b128 v[4:7], v15 offset:1280
	v_mad_u64_u32 v[13:14], s[0:1], s16, v18, 0
	v_mov_b32_e32 v9, v12
	s_waitcnt lgkmcnt(1)
	global_store_dwordx4 v[10:11], v[0:3], off
	s_nop 0
	v_mov_b32_e32 v2, v14
	v_mad_u64_u32 v[2:3], s[0:1], s17, v18, v[2:3]
	v_lshlrev_b64 v[0:1], 4, v[8:9]
	v_or_b32_e32 v18, 0x80, v48
	v_mov_b32_e32 v14, v2
	v_add_u32_e32 v2, 0x70, v48
	v_add_co_u32_e32 v0, vcc, v16, v0
	v_mad_u64_u32 v[8:9], s[0:1], s16, v2, 0
	v_addc_co_u32_e32 v1, vcc, v17, v1, vcc
	s_waitcnt lgkmcnt(0)
	global_store_dwordx4 v[0:1], v[4:7], off
	v_lshlrev_b64 v[0:1], 4, v[13:14]
	v_add_co_u32_e32 v10, vcc, v16, v0
	v_mov_b32_e32 v0, v9
	v_mad_u64_u32 v[12:13], s[0:1], s17, v2, v[0:1]
	v_addc_co_u32_e32 v11, vcc, v17, v1, vcc
	ds_read_b128 v[0:3], v15 offset:1536
	ds_read_b128 v[4:7], v15 offset:1792
	v_mad_u64_u32 v[13:14], s[0:1], s16, v18, 0
	v_mov_b32_e32 v9, v12
	s_waitcnt lgkmcnt(1)
	global_store_dwordx4 v[10:11], v[0:3], off
	s_nop 0
	;; [unrolled: 23-line block ×4, first 2 shown]
	v_mov_b32_e32 v2, v14
	v_lshlrev_b64 v[0:1], 4, v[8:9]
	v_mad_u64_u32 v[2:3], s[0:1], s17, v18, v[2:3]
	v_add_co_u32_e32 v0, vcc, v16, v0
	v_addc_co_u32_e32 v1, vcc, v17, v1, vcc
	s_waitcnt lgkmcnt(0)
	global_store_dwordx4 v[0:1], v[4:7], off
	v_mov_b32_e32 v14, v2
	ds_read_b128 v[0:3], v15 offset:3072
	v_lshlrev_b64 v[4:5], 4, v[13:14]
	v_add_co_u32_e32 v4, vcc, v16, v4
	v_addc_co_u32_e32 v5, vcc, v17, v5, vcc
	s_waitcnt lgkmcnt(0)
	global_store_dwordx4 v[4:5], v[0:3], off
.LBB0_22:
	s_endpgm
	.section	.rodata,"a",@progbits
	.p2align	6, 0x0
	.amdhsa_kernel fft_rtc_fwd_len208_factors_13_16_wgs_144_tpt_16_dp_ip_CI_sbcc_twdbase5_3step
		.amdhsa_group_segment_fixed_size 0
		.amdhsa_private_segment_fixed_size 36
		.amdhsa_kernarg_size 96
		.amdhsa_user_sgpr_count 6
		.amdhsa_user_sgpr_private_segment_buffer 1
		.amdhsa_user_sgpr_dispatch_ptr 0
		.amdhsa_user_sgpr_queue_ptr 0
		.amdhsa_user_sgpr_kernarg_segment_ptr 1
		.amdhsa_user_sgpr_dispatch_id 0
		.amdhsa_user_sgpr_flat_scratch_init 0
		.amdhsa_user_sgpr_private_segment_size 0
		.amdhsa_uses_dynamic_stack 0
		.amdhsa_system_sgpr_private_segment_wavefront_offset 1
		.amdhsa_system_sgpr_workgroup_id_x 1
		.amdhsa_system_sgpr_workgroup_id_y 0
		.amdhsa_system_sgpr_workgroup_id_z 0
		.amdhsa_system_sgpr_workgroup_info 0
		.amdhsa_system_vgpr_workitem_id 0
		.amdhsa_next_free_vgpr 256
		.amdhsa_next_free_sgpr 48
		.amdhsa_reserve_vcc 1
		.amdhsa_reserve_flat_scratch 0
		.amdhsa_float_round_mode_32 0
		.amdhsa_float_round_mode_16_64 0
		.amdhsa_float_denorm_mode_32 3
		.amdhsa_float_denorm_mode_16_64 3
		.amdhsa_dx10_clamp 1
		.amdhsa_ieee_mode 1
		.amdhsa_fp16_overflow 0
		.amdhsa_exception_fp_ieee_invalid_op 0
		.amdhsa_exception_fp_denorm_src 0
		.amdhsa_exception_fp_ieee_div_zero 0
		.amdhsa_exception_fp_ieee_overflow 0
		.amdhsa_exception_fp_ieee_underflow 0
		.amdhsa_exception_fp_ieee_inexact 0
		.amdhsa_exception_int_div_zero 0
	.end_amdhsa_kernel
	.text
.Lfunc_end0:
	.size	fft_rtc_fwd_len208_factors_13_16_wgs_144_tpt_16_dp_ip_CI_sbcc_twdbase5_3step, .Lfunc_end0-fft_rtc_fwd_len208_factors_13_16_wgs_144_tpt_16_dp_ip_CI_sbcc_twdbase5_3step
                                        ; -- End function
	.section	.AMDGPU.csdata,"",@progbits
; Kernel info:
; codeLenInByte = 12836
; NumSgprs: 52
; NumVgprs: 256
; ScratchSize: 36
; MemoryBound: 0
; FloatMode: 240
; IeeeMode: 1
; LDSByteSize: 0 bytes/workgroup (compile time only)
; SGPRBlocks: 6
; VGPRBlocks: 63
; NumSGPRsForWavesPerEU: 52
; NumVGPRsForWavesPerEU: 256
; Occupancy: 1
; WaveLimiterHint : 1
; COMPUTE_PGM_RSRC2:SCRATCH_EN: 1
; COMPUTE_PGM_RSRC2:USER_SGPR: 6
; COMPUTE_PGM_RSRC2:TRAP_HANDLER: 0
; COMPUTE_PGM_RSRC2:TGID_X_EN: 1
; COMPUTE_PGM_RSRC2:TGID_Y_EN: 0
; COMPUTE_PGM_RSRC2:TGID_Z_EN: 0
; COMPUTE_PGM_RSRC2:TIDIG_COMP_CNT: 0
	.type	__hip_cuid_6553534c286dc516,@object ; @__hip_cuid_6553534c286dc516
	.section	.bss,"aw",@nobits
	.globl	__hip_cuid_6553534c286dc516
__hip_cuid_6553534c286dc516:
	.byte	0                               ; 0x0
	.size	__hip_cuid_6553534c286dc516, 1

	.ident	"AMD clang version 19.0.0git (https://github.com/RadeonOpenCompute/llvm-project roc-6.4.0 25133 c7fe45cf4b819c5991fe208aaa96edf142730f1d)"
	.section	".note.GNU-stack","",@progbits
	.addrsig
	.addrsig_sym __hip_cuid_6553534c286dc516
	.amdgpu_metadata
---
amdhsa.kernels:
  - .args:
      - .actual_access:  read_only
        .address_space:  global
        .offset:         0
        .size:           8
        .value_kind:     global_buffer
      - .address_space:  global
        .offset:         8
        .size:           8
        .value_kind:     global_buffer
      - .offset:         16
        .size:           8
        .value_kind:     by_value
      - .actual_access:  read_only
        .address_space:  global
        .offset:         24
        .size:           8
        .value_kind:     global_buffer
      - .actual_access:  read_only
        .address_space:  global
        .offset:         32
        .size:           8
        .value_kind:     global_buffer
      - .offset:         40
        .size:           8
        .value_kind:     by_value
      - .actual_access:  read_only
        .address_space:  global
        .offset:         48
        .size:           8
        .value_kind:     global_buffer
      - .actual_access:  read_only
        .address_space:  global
        .offset:         56
        .size:           8
        .value_kind:     global_buffer
      - .offset:         64
        .size:           4
        .value_kind:     by_value
      - .actual_access:  read_only
        .address_space:  global
        .offset:         72
        .size:           8
        .value_kind:     global_buffer
      - .actual_access:  read_only
        .address_space:  global
        .offset:         80
        .size:           8
        .value_kind:     global_buffer
      - .address_space:  global
        .offset:         88
        .size:           8
        .value_kind:     global_buffer
    .group_segment_fixed_size: 0
    .kernarg_segment_align: 8
    .kernarg_segment_size: 96
    .language:       OpenCL C
    .language_version:
      - 2
      - 0
    .max_flat_workgroup_size: 144
    .name:           fft_rtc_fwd_len208_factors_13_16_wgs_144_tpt_16_dp_ip_CI_sbcc_twdbase5_3step
    .private_segment_fixed_size: 36
    .sgpr_count:     52
    .sgpr_spill_count: 0
    .symbol:         fft_rtc_fwd_len208_factors_13_16_wgs_144_tpt_16_dp_ip_CI_sbcc_twdbase5_3step.kd
    .uniform_work_group_size: 1
    .uses_dynamic_stack: false
    .vgpr_count:     256
    .vgpr_spill_count: 9
    .wavefront_size: 64
amdhsa.target:   amdgcn-amd-amdhsa--gfx906
amdhsa.version:
  - 1
  - 2
...

	.end_amdgpu_metadata
